;; amdgpu-corpus repo=ROCm/rocFFT kind=compiled arch=gfx1030 opt=O3
	.text
	.amdgcn_target "amdgcn-amd-amdhsa--gfx1030"
	.amdhsa_code_object_version 6
	.protected	fft_rtc_back_len1360_factors_17_5_16_wgs_255_tpt_85_halfLds_sp_ip_CI_unitstride_sbrr_dirReg ; -- Begin function fft_rtc_back_len1360_factors_17_5_16_wgs_255_tpt_85_halfLds_sp_ip_CI_unitstride_sbrr_dirReg
	.globl	fft_rtc_back_len1360_factors_17_5_16_wgs_255_tpt_85_halfLds_sp_ip_CI_unitstride_sbrr_dirReg
	.p2align	8
	.type	fft_rtc_back_len1360_factors_17_5_16_wgs_255_tpt_85_halfLds_sp_ip_CI_unitstride_sbrr_dirReg,@function
fft_rtc_back_len1360_factors_17_5_16_wgs_255_tpt_85_halfLds_sp_ip_CI_unitstride_sbrr_dirReg: ; @fft_rtc_back_len1360_factors_17_5_16_wgs_255_tpt_85_halfLds_sp_ip_CI_unitstride_sbrr_dirReg
; %bb.0:
	s_load_dwordx4 s[8:11], s[4:5], 0x0
	v_mul_u32_u24_e32 v1, 0x304, v0
	s_clause 0x1
	s_load_dwordx2 s[2:3], s[4:5], 0x50
	s_load_dwordx2 s[12:13], s[4:5], 0x18
	v_mov_b32_e32 v3, 0
	v_lshrrev_b32_e32 v1, 16, v1
	v_mad_u64_u32 v[40:41], null, s6, 3, v[1:2]
	v_mov_b32_e32 v41, v3
	v_mov_b32_e32 v1, 0
	;; [unrolled: 1-line block ×4, first 2 shown]
	s_waitcnt lgkmcnt(0)
	v_cmp_lt_u64_e64 s0, s[10:11], 2
	v_mov_b32_e32 v9, v41
	s_and_b32 vcc_lo, exec_lo, s0
	s_cbranch_vccnz .LBB0_8
; %bb.1:
	s_load_dwordx2 s[0:1], s[4:5], 0x10
	v_mov_b32_e32 v1, 0
	v_mov_b32_e32 v5, v40
	s_add_u32 s6, s12, 8
	v_mov_b32_e32 v2, 0
	v_mov_b32_e32 v6, v41
	s_addc_u32 s7, s13, 0
	s_mov_b64 s[16:17], 1
	s_waitcnt lgkmcnt(0)
	s_add_u32 s14, s0, 8
	s_addc_u32 s15, s1, 0
.LBB0_2:                                ; =>This Inner Loop Header: Depth=1
	s_load_dwordx2 s[18:19], s[14:15], 0x0
                                        ; implicit-def: $vgpr8_vgpr9
	s_mov_b32 s0, exec_lo
	s_waitcnt lgkmcnt(0)
	v_or_b32_e32 v4, s19, v6
	v_cmpx_ne_u64_e32 0, v[3:4]
	s_xor_b32 s1, exec_lo, s0
	s_cbranch_execz .LBB0_4
; %bb.3:                                ;   in Loop: Header=BB0_2 Depth=1
	v_cvt_f32_u32_e32 v4, s18
	v_cvt_f32_u32_e32 v7, s19
	s_sub_u32 s0, 0, s18
	s_subb_u32 s20, 0, s19
	v_fmac_f32_e32 v4, 0x4f800000, v7
	v_rcp_f32_e32 v4, v4
	v_mul_f32_e32 v4, 0x5f7ffffc, v4
	v_mul_f32_e32 v7, 0x2f800000, v4
	v_trunc_f32_e32 v7, v7
	v_fmac_f32_e32 v4, 0xcf800000, v7
	v_cvt_u32_f32_e32 v7, v7
	v_cvt_u32_f32_e32 v4, v4
	v_mul_lo_u32 v8, s0, v7
	v_mul_hi_u32 v9, s0, v4
	v_mul_lo_u32 v10, s20, v4
	v_add_nc_u32_e32 v8, v9, v8
	v_mul_lo_u32 v9, s0, v4
	v_add_nc_u32_e32 v8, v8, v10
	v_mul_hi_u32 v10, v4, v9
	v_mul_lo_u32 v11, v4, v8
	v_mul_hi_u32 v12, v4, v8
	v_mul_hi_u32 v13, v7, v9
	v_mul_lo_u32 v9, v7, v9
	v_mul_hi_u32 v14, v7, v8
	v_mul_lo_u32 v8, v7, v8
	v_add_co_u32 v10, vcc_lo, v10, v11
	v_add_co_ci_u32_e32 v11, vcc_lo, 0, v12, vcc_lo
	v_add_co_u32 v9, vcc_lo, v10, v9
	v_add_co_ci_u32_e32 v9, vcc_lo, v11, v13, vcc_lo
	v_add_co_ci_u32_e32 v10, vcc_lo, 0, v14, vcc_lo
	v_add_co_u32 v8, vcc_lo, v9, v8
	v_add_co_ci_u32_e32 v9, vcc_lo, 0, v10, vcc_lo
	v_add_co_u32 v4, vcc_lo, v4, v8
	v_add_co_ci_u32_e32 v7, vcc_lo, v7, v9, vcc_lo
	v_mul_hi_u32 v8, s0, v4
	v_mul_lo_u32 v10, s20, v4
	v_mul_lo_u32 v9, s0, v7
	v_add_nc_u32_e32 v8, v8, v9
	v_mul_lo_u32 v9, s0, v4
	v_add_nc_u32_e32 v8, v8, v10
	v_mul_hi_u32 v10, v4, v9
	v_mul_lo_u32 v11, v4, v8
	v_mul_hi_u32 v12, v4, v8
	v_mul_hi_u32 v13, v7, v9
	v_mul_lo_u32 v9, v7, v9
	v_mul_hi_u32 v14, v7, v8
	v_mul_lo_u32 v8, v7, v8
	v_add_co_u32 v10, vcc_lo, v10, v11
	v_add_co_ci_u32_e32 v11, vcc_lo, 0, v12, vcc_lo
	v_add_co_u32 v9, vcc_lo, v10, v9
	v_add_co_ci_u32_e32 v9, vcc_lo, v11, v13, vcc_lo
	v_add_co_ci_u32_e32 v10, vcc_lo, 0, v14, vcc_lo
	v_add_co_u32 v8, vcc_lo, v9, v8
	v_add_co_ci_u32_e32 v9, vcc_lo, 0, v10, vcc_lo
	v_add_co_u32 v4, vcc_lo, v4, v8
	v_add_co_ci_u32_e32 v11, vcc_lo, v7, v9, vcc_lo
	v_mul_hi_u32 v13, v5, v4
	v_mad_u64_u32 v[9:10], null, v6, v4, 0
	v_mad_u64_u32 v[7:8], null, v5, v11, 0
	v_mad_u64_u32 v[11:12], null, v6, v11, 0
	v_add_co_u32 v4, vcc_lo, v13, v7
	v_add_co_ci_u32_e32 v7, vcc_lo, 0, v8, vcc_lo
	v_add_co_u32 v4, vcc_lo, v4, v9
	v_add_co_ci_u32_e32 v4, vcc_lo, v7, v10, vcc_lo
	v_add_co_ci_u32_e32 v7, vcc_lo, 0, v12, vcc_lo
	v_add_co_u32 v4, vcc_lo, v4, v11
	v_add_co_ci_u32_e32 v9, vcc_lo, 0, v7, vcc_lo
	v_mul_lo_u32 v10, s19, v4
	v_mad_u64_u32 v[7:8], null, s18, v4, 0
	v_mul_lo_u32 v11, s18, v9
	v_sub_co_u32 v7, vcc_lo, v5, v7
	v_add3_u32 v8, v8, v11, v10
	v_sub_nc_u32_e32 v10, v6, v8
	v_subrev_co_ci_u32_e64 v10, s0, s19, v10, vcc_lo
	v_add_co_u32 v11, s0, v4, 2
	v_add_co_ci_u32_e64 v12, s0, 0, v9, s0
	v_sub_co_u32 v13, s0, v7, s18
	v_sub_co_ci_u32_e32 v8, vcc_lo, v6, v8, vcc_lo
	v_subrev_co_ci_u32_e64 v10, s0, 0, v10, s0
	v_cmp_le_u32_e32 vcc_lo, s18, v13
	v_cmp_eq_u32_e64 s0, s19, v8
	v_cndmask_b32_e64 v13, 0, -1, vcc_lo
	v_cmp_le_u32_e32 vcc_lo, s19, v10
	v_cndmask_b32_e64 v14, 0, -1, vcc_lo
	v_cmp_le_u32_e32 vcc_lo, s18, v7
	;; [unrolled: 2-line block ×3, first 2 shown]
	v_cndmask_b32_e64 v15, 0, -1, vcc_lo
	v_cmp_eq_u32_e32 vcc_lo, s19, v10
	v_cndmask_b32_e64 v7, v15, v7, s0
	v_cndmask_b32_e32 v10, v14, v13, vcc_lo
	v_add_co_u32 v13, vcc_lo, v4, 1
	v_add_co_ci_u32_e32 v14, vcc_lo, 0, v9, vcc_lo
	v_cmp_ne_u32_e32 vcc_lo, 0, v10
	v_cndmask_b32_e32 v8, v14, v12, vcc_lo
	v_cndmask_b32_e32 v10, v13, v11, vcc_lo
	v_cmp_ne_u32_e32 vcc_lo, 0, v7
	v_cndmask_b32_e32 v9, v9, v8, vcc_lo
	v_cndmask_b32_e32 v8, v4, v10, vcc_lo
.LBB0_4:                                ;   in Loop: Header=BB0_2 Depth=1
	s_andn2_saveexec_b32 s0, s1
	s_cbranch_execz .LBB0_6
; %bb.5:                                ;   in Loop: Header=BB0_2 Depth=1
	v_cvt_f32_u32_e32 v4, s18
	s_sub_i32 s1, 0, s18
	v_rcp_iflag_f32_e32 v4, v4
	v_mul_f32_e32 v4, 0x4f7ffffe, v4
	v_cvt_u32_f32_e32 v4, v4
	v_mul_lo_u32 v7, s1, v4
	v_mul_hi_u32 v7, v4, v7
	v_add_nc_u32_e32 v4, v4, v7
	v_mul_hi_u32 v4, v5, v4
	v_mul_lo_u32 v7, v4, s18
	v_add_nc_u32_e32 v8, 1, v4
	v_sub_nc_u32_e32 v7, v5, v7
	v_subrev_nc_u32_e32 v9, s18, v7
	v_cmp_le_u32_e32 vcc_lo, s18, v7
	v_cndmask_b32_e32 v7, v7, v9, vcc_lo
	v_cndmask_b32_e32 v4, v4, v8, vcc_lo
	v_mov_b32_e32 v9, v3
	v_cmp_le_u32_e32 vcc_lo, s18, v7
	v_add_nc_u32_e32 v8, 1, v4
	v_cndmask_b32_e32 v8, v4, v8, vcc_lo
.LBB0_6:                                ;   in Loop: Header=BB0_2 Depth=1
	s_or_b32 exec_lo, exec_lo, s0
	s_load_dwordx2 s[0:1], s[6:7], 0x0
	v_mul_lo_u32 v4, v9, s18
	v_mul_lo_u32 v7, v8, s19
	v_mad_u64_u32 v[10:11], null, v8, s18, 0
	s_add_u32 s16, s16, 1
	s_addc_u32 s17, s17, 0
	s_add_u32 s6, s6, 8
	s_addc_u32 s7, s7, 0
	;; [unrolled: 2-line block ×3, first 2 shown]
	v_add3_u32 v4, v11, v7, v4
	v_sub_co_u32 v5, vcc_lo, v5, v10
	v_sub_co_ci_u32_e32 v4, vcc_lo, v6, v4, vcc_lo
	s_waitcnt lgkmcnt(0)
	v_mul_lo_u32 v6, s1, v5
	v_mul_lo_u32 v4, s0, v4
	v_mad_u64_u32 v[1:2], null, s0, v5, v[1:2]
	v_cmp_ge_u64_e64 s0, s[16:17], s[10:11]
	s_and_b32 vcc_lo, exec_lo, s0
	v_add3_u32 v2, v6, v2, v4
	s_cbranch_vccnz .LBB0_8
; %bb.7:                                ;   in Loop: Header=BB0_2 Depth=1
	v_mov_b32_e32 v5, v8
	v_mov_b32_e32 v6, v9
	s_branch .LBB0_2
.LBB0_8:
	s_lshl_b64 s[0:1], s[10:11], 3
	v_mul_hi_u32 v3, 0x3030304, v0
	s_add_u32 s0, s12, s0
	s_addc_u32 s1, s13, s1
	v_mov_b32_e32 v7, 0
	s_load_dwordx2 s[0:1], s[0:1], 0x0
	s_load_dwordx2 s[4:5], s[4:5], 0x20
                                        ; implicit-def: $vgpr35
                                        ; implicit-def: $vgpr33
                                        ; implicit-def: $vgpr31
                                        ; implicit-def: $vgpr39
                                        ; implicit-def: $vgpr37
                                        ; implicit-def: $vgpr23
                                        ; implicit-def: $vgpr29
                                        ; implicit-def: $vgpr27
                                        ; implicit-def: $vgpr21
                                        ; implicit-def: $vgpr17
                                        ; implicit-def: $vgpr25
                                        ; implicit-def: $vgpr19
                                        ; implicit-def: $vgpr15
                                        ; implicit-def: $vgpr11
                                        ; implicit-def: $vgpr13
	v_mul_u32_u24_e32 v4, 0x55, v3
	v_mov_b32_e32 v3, 0
	v_sub_nc_u32_e32 v4, v0, v4
	s_waitcnt lgkmcnt(0)
	v_mul_lo_u32 v5, s0, v9
	v_mul_lo_u32 v6, s1, v8
	v_mad_u64_u32 v[1:2], null, s0, v8, v[1:2]
	v_cmp_gt_u64_e32 vcc_lo, s[4:5], v[8:9]
                                        ; implicit-def: $vgpr9
	v_add3_u32 v2, v6, v2, v5
	v_mov_b32_e32 v6, 0
	s_and_saveexec_b32 s1, vcc_lo
	s_cbranch_execz .LBB0_12
; %bb.9:
	v_mov_b32_e32 v6, 0
	v_mov_b32_e32 v7, 0
	s_mov_b32 s4, exec_lo
                                        ; implicit-def: $vgpr12
                                        ; implicit-def: $vgpr10
                                        ; implicit-def: $vgpr14
                                        ; implicit-def: $vgpr18
                                        ; implicit-def: $vgpr24
                                        ; implicit-def: $vgpr16
                                        ; implicit-def: $vgpr20
                                        ; implicit-def: $vgpr26
                                        ; implicit-def: $vgpr28
                                        ; implicit-def: $vgpr8
                                        ; implicit-def: $vgpr22
                                        ; implicit-def: $vgpr36
                                        ; implicit-def: $vgpr38
                                        ; implicit-def: $vgpr30
                                        ; implicit-def: $vgpr32
                                        ; implicit-def: $vgpr34
	v_cmpx_gt_u32_e32 0x50, v4
	s_cbranch_execz .LBB0_11
; %bb.10:
	v_mov_b32_e32 v5, 0
	v_lshlrev_b64 v[6:7], 3, v[1:2]
	v_or_b32_e32 v14, 0x280, v4
	v_or_b32_e32 v24, 0x500, v4
	v_lshlrev_b64 v[8:9], 3, v[4:5]
	v_mov_b32_e32 v15, v5
	v_add_co_u32 v0, s0, s2, v6
	v_add_co_ci_u32_e64 v3, s0, s3, v7, s0
	v_lshlrev_b64 v[14:15], 3, v[14:15]
	v_add_co_u32 v10, s0, v0, v8
	v_add_co_ci_u32_e64 v11, s0, v3, v9, s0
	v_mov_b32_e32 v25, v5
	v_add_co_u32 v8, s0, 0x800, v10
	v_add_co_ci_u32_e64 v9, s0, 0, v11, s0
	v_add_co_u32 v12, s0, 0x1000, v10
	v_add_co_ci_u32_e64 v13, s0, 0, v11, s0
	;; [unrolled: 2-line block ×4, first 2 shown]
	s_clause 0xb
	global_load_dwordx2 v[6:7], v[10:11], off
	global_load_dwordx2 v[34:35], v[10:11], off offset:640
	global_load_dwordx2 v[32:33], v[10:11], off offset:1280
	;; [unrolled: 1-line block ×9, first 2 shown]
	global_load_dwordx2 v[28:29], v[14:15], off
	global_load_dwordx2 v[26:27], v[12:13], off offset:1664
	v_lshlrev_b64 v[12:13], 3, v[24:25]
	v_add_co_u32 v10, s0, 0x2000, v10
	v_add_co_ci_u32_e64 v11, s0, 0, v11, s0
	v_add_co_u32 v41, s0, v0, v12
	v_add_co_ci_u32_e64 v42, s0, v3, v13, s0
	s_clause 0x4
	global_load_dwordx2 v[24:25], v[18:19], off offset:1536
	global_load_dwordx2 v[18:19], v[10:11], off offset:128
	;; [unrolled: 1-line block ×4, first 2 shown]
	global_load_dwordx2 v[10:11], v[41:42], off
.LBB0_11:
	s_or_b32 exec_lo, exec_lo, s4
	v_mov_b32_e32 v3, v4
.LBB0_12:
	s_or_b32 exec_lo, exec_lo, s1
	s_waitcnt vmcnt(0)
	v_sub_f32_e32 v71, v35, v11
	v_add_f32_e32 v5, v34, v10
	v_sub_f32_e32 v72, v33, v13
	v_add_f32_e32 v41, v32, v12
	v_sub_f32_e32 v70, v31, v15
	v_mul_f32_e32 v42, 0xbeb8f4ab, v71
	v_mul_f32_e32 v69, 0xbf2c7751, v71
	;; [unrolled: 1-line block ×4, first 2 shown]
	v_add_f32_e32 v46, v30, v14
	v_fma_f32 v44, 0x3f6eb680, v5, -v42
	v_fma_f32 v45, 0x3f3d2fb0, v5, -v69
	;; [unrolled: 1-line block ×4, first 2 shown]
	v_mul_f32_e32 v58, 0xbf4c4adb, v70
	v_add_f32_e32 v49, v6, v44
	v_add_f32_e32 v45, v6, v45
	v_mul_f32_e32 v44, 0xbf65296c, v70
	v_sub_f32_e32 v73, v39, v19
	v_fma_f32 v52, 0xbf1a4643, v46, -v58
	v_add_f32_e32 v47, v49, v47
	v_add_f32_e32 v48, v45, v48
	v_fma_f32 v51, 0x3ee437d1, v46, -v44
	v_add_f32_e32 v49, v38, v18
	v_mul_f32_e32 v45, 0xbf7ee86f, v73
	v_mul_f32_e32 v57, 0xbe3c28d5, v73
	v_sub_f32_e32 v65, v37, v25
	v_add_f32_e32 v53, v51, v47
	v_add_f32_e32 v48, v52, v48
	v_fma_f32 v52, 0x3dbcf732, v49, -v45
	v_fma_f32 v54, 0xbf7ba420, v49, -v57
	v_add_f32_e32 v59, v36, v24
	v_mul_f32_e32 v47, 0xbf763a35, v65
	v_sub_f32_e32 v68, v23, v17
	v_mul_hi_u32 v0, 0xaaaaaaab, v40
	v_mul_f32_e32 v51, 0x3f06c442, v65
	v_add_f32_e32 v52, v52, v53
	v_add_f32_e32 v53, v54, v48
	v_fma_f32 v55, 0xbe8c1d8e, v59, -v47
	v_add_f32_e32 v64, v22, v16
	v_mul_f32_e32 v48, 0xbf4c4adb, v68
	v_fma_f32 v56, 0xbf59a7d5, v59, -v51
	v_lshrrev_b32_e32 v0, 1, v0
	v_mul_f32_e32 v54, 0x3f763a35, v68
	v_add_f32_e32 v52, v55, v52
	v_sub_f32_e32 v55, v9, v21
	v_fma_f32 v61, 0xbf1a4643, v64, -v48
	v_lshl_add_u32 v0, v0, 1, v0
	v_add_f32_e32 v53, v56, v53
	v_fma_f32 v62, 0xbe8c1d8e, v64, -v54
	v_add_f32_e32 v66, v8, v20
	v_mul_f32_e32 v56, 0xbf06c442, v55
	v_mul_f32_e32 v60, 0x3f65296c, v55
	v_add_f32_e32 v52, v61, v52
	v_sub_f32_e32 v61, v29, v27
	v_add_f32_e32 v53, v62, v53
	v_fma_f32 v74, 0xbf59a7d5, v66, -v56
	v_fma_f32 v75, 0x3ee437d1, v66, -v60
	v_add_f32_e32 v67, v28, v26
	v_mul_f32_e32 v63, 0xbe3c28d5, v61
	v_mul_f32_e32 v62, 0x3eb8f4ab, v61
	v_sub_nc_u32_e32 v0, v40, v0
	v_add_f32_e32 v40, v74, v52
	v_add_f32_e32 v52, v75, v53
	v_fma_f32 v53, 0xbf7ba420, v67, -v63
	v_fma_f32 v74, 0x3f6eb680, v67, -v62
	v_mul_u32_u24_e32 v0, 0x550, v0
	v_cmp_gt_u32_e64 s1, 0x50, v4
	v_add_f32_e32 v53, v53, v40
	v_add_f32_e32 v52, v74, v52
	v_lshlrev_b32_e32 v0, 2, v0
	s_and_saveexec_b32 s0, s1
	s_cbranch_execz .LBB0_14
; %bb.13:
	v_mul_f32_e32 v40, 0xbf7ba420, v5
	v_mul_f32_e32 v74, 0x3f6eb680, v41
	;; [unrolled: 1-line block ×5, first 2 shown]
	v_fmamk_f32 v78, v71, 0x3e3c28d5, v40
	v_fmac_f32_e32 v40, 0xbe3c28d5, v71
	v_fmamk_f32 v81, v72, 0xbeb8f4ab, v74
	v_fmac_f32_e32 v74, 0x3eb8f4ab, v72
	v_fmamk_f32 v83, v70, 0x3f06c442, v77
	v_add_f32_e32 v78, v6, v78
	v_add_f32_e32 v40, v6, v40
	v_mul_f32_e32 v76, 0x3ee437d1, v41
	v_mul_f32_e32 v80, 0xbf1a4643, v59
	v_fmamk_f32 v82, v71, 0x3f06c442, v75
	v_add_f32_e32 v78, v78, v81
	v_fmac_f32_e32 v77, 0xbf06c442, v70
	v_add_f32_e32 v40, v40, v74
	v_fmamk_f32 v74, v73, 0xbf2c7751, v79
	v_fmamk_f32 v81, v72, 0xbf65296c, v76
	v_add_f32_e32 v78, v83, v78
	v_fmac_f32_e32 v79, 0x3f2c7751, v73
	v_fmamk_f32 v83, v65, 0x3f4c4adb, v80
	v_add_f32_e32 v40, v77, v40
	v_add_f32_e32 v77, v6, v82
	;; [unrolled: 1-line block ×3, first 2 shown]
	v_mul_f32_e32 v78, 0x3ee437d1, v64
	v_fmac_f32_e32 v80, 0xbf4c4adb, v65
	v_add_f32_e32 v40, v79, v40
	v_add_f32_e32 v77, v77, v81
	;; [unrolled: 1-line block ×3, first 2 shown]
	v_fmamk_f32 v79, v68, 0xbf65296c, v78
	v_mul_f32_e32 v81, 0x3dbcf732, v46
	v_add_f32_e32 v40, v80, v40
	v_fmac_f32_e32 v78, 0x3f65296c, v68
	v_mul_f32_e32 v80, 0xbe8c1d8e, v66
	v_add_f32_e32 v74, v79, v74
	v_fmamk_f32 v79, v70, 0x3f7ee86f, v81
	v_mul_f32_e32 v82, 0xbf1a4643, v49
	v_add_f32_e32 v40, v78, v40
	v_fmamk_f32 v78, v55, 0x3f763a35, v80
	;; [unrolled: 3-line block ×5, first 2 shown]
	v_fmac_f32_e32 v80, 0xbf763a35, v55
	v_fmac_f32_e32 v75, 0xbf06c442, v71
	v_add_f32_e32 v74, v78, v74
	v_fmamk_f32 v78, v68, 0x3e3c28d5, v85
	v_add_f32_e32 v77, v79, v77
	v_mul_f32_e32 v79, 0x3f3d2fb0, v66
	v_add_f32_e32 v40, v80, v40
	v_add_f32_e32 v75, v6, v75
	v_fmac_f32_e32 v76, 0x3f65296c, v72
	v_add_f32_e32 v77, v78, v77
	v_fmamk_f32 v78, v55, 0xbf2c7751, v79
	v_mul_f32_e32 v80, 0xbf1a4643, v5
	v_fmac_f32_e32 v83, 0x3f7ee86f, v61
	v_add_f32_e32 v75, v75, v76
	v_fmac_f32_e32 v81, 0xbf7ee86f, v70
	v_add_f32_e32 v76, v78, v77
	v_fmamk_f32 v77, v71, 0x3f4c4adb, v80
	v_mul_f32_e32 v78, 0xbe8c1d8e, v41
	v_add_f32_e32 v40, v83, v40
	v_add_f32_e32 v75, v81, v75
	v_fmac_f32_e32 v82, 0x3f4c4adb, v73
	v_mul_f32_e32 v81, 0xbe8c1d8e, v67
	v_add_f32_e32 v77, v6, v77
	v_fmamk_f32 v83, v72, 0xbf763a35, v78
	v_mul_f32_e32 v86, 0x3f6eb680, v46
	v_add_f32_e32 v75, v82, v75
	v_fmac_f32_e32 v84, 0xbeb8f4ab, v65
	v_fmamk_f32 v82, v61, 0x3f763a35, v81
	v_add_f32_e32 v77, v77, v83
	v_fmamk_f32 v83, v70, 0x3eb8f4ab, v86
	v_mul_f32_e32 v87, 0xbf59a7d5, v49
	v_add_f32_e32 v75, v84, v75
	v_fmac_f32_e32 v85, 0xbe3c28d5, v68
	v_add_f32_e32 v76, v82, v76
	v_add_f32_e32 v77, v83, v77
	v_fmamk_f32 v82, v73, 0x3f06c442, v87
	v_mul_f32_e32 v83, 0x3dbcf732, v59
	v_add_f32_e32 v75, v85, v75
	v_fmac_f32_e32 v79, 0x3f2c7751, v55
	v_fmac_f32_e32 v80, 0xbf4c4adb, v71
	v_add_f32_e32 v77, v82, v77
	v_fmamk_f32 v82, v65, 0xbf7ee86f, v83
	v_mul_f32_e32 v84, 0x3f3d2fb0, v64
	v_add_f32_e32 v75, v79, v75
	v_add_f32_e32 v79, v6, v80
	v_fmac_f32_e32 v78, 0x3f763a35, v72
	v_add_f32_e32 v77, v82, v77
	v_fmamk_f32 v80, v68, 0x3f2c7751, v84
	v_mul_f32_e32 v82, 0xbf7ba420, v66
	v_fmac_f32_e32 v81, 0xbf763a35, v61
	v_add_f32_e32 v78, v79, v78
	v_fmac_f32_e32 v86, 0xbeb8f4ab, v70
	v_add_f32_e32 v77, v80, v77
	v_fmamk_f32 v79, v55, 0x3e3c28d5, v82
	v_mul_f32_e32 v80, 0xbe8c1d8e, v5
	v_add_f32_e32 v75, v81, v75
	v_add_f32_e32 v78, v86, v78
	v_fmac_f32_e32 v87, 0xbf06c442, v73
	v_add_f32_e32 v77, v79, v77
	v_mul_f32_e32 v79, 0x3ee437d1, v67
	v_fmamk_f32 v81, v71, 0x3f763a35, v80
	v_mul_f32_e32 v85, 0xbf59a7d5, v41
	v_add_f32_e32 v78, v87, v78
	v_fmac_f32_e32 v83, 0x3f7ee86f, v65
	v_fmamk_f32 v86, v61, 0xbf65296c, v79
	v_add_f32_e32 v81, v6, v81
	v_fmamk_f32 v87, v72, 0xbf06c442, v85
	v_mul_f32_e32 v88, 0x3f3d2fb0, v46
	v_add_f32_e32 v78, v83, v78
	v_fmac_f32_e32 v84, 0xbf2c7751, v68
	v_add_f32_e32 v77, v86, v77
	v_add_f32_e32 v81, v81, v87
	v_fmamk_f32 v83, v70, 0xbf2c7751, v88
	v_mul_f32_e32 v86, 0x3ee437d1, v49
	v_add_f32_e32 v78, v84, v78
	v_fmac_f32_e32 v82, 0xbe3c28d5, v55
	v_fmac_f32_e32 v80, 0xbf763a35, v71
	v_add_f32_e32 v81, v83, v81
	v_fmamk_f32 v83, v73, 0x3f65296c, v86
	v_mul_f32_e32 v84, 0xbf7ba420, v59
	v_add_f32_e32 v78, v82, v78
	v_add_f32_e32 v80, v6, v80
	v_fmac_f32_e32 v85, 0x3f06c442, v72
	v_add_f32_e32 v81, v83, v81
	v_fmamk_f32 v82, v65, 0x3e3c28d5, v84
	v_mul_f32_e32 v83, 0x3dbcf732, v64
	v_fmac_f32_e32 v79, 0x3f65296c, v61
	v_add_f32_e32 v80, v80, v85
	v_fmac_f32_e32 v88, 0x3f2c7751, v70
	v_add_f32_e32 v81, v82, v81
	v_fmamk_f32 v82, v68, 0xbf7ee86f, v83
	v_mul_f32_e32 v85, 0x3dbcf732, v5
	v_add_f32_e32 v78, v79, v78
	v_add_f32_e32 v79, v88, v80
	v_fmac_f32_e32 v86, 0xbf65296c, v73
	v_add_f32_e32 v80, v82, v81
	v_fmamk_f32 v81, v71, 0x3f7ee86f, v85
	v_mul_f32_e32 v82, 0xbf7ba420, v41
	v_fmac_f32_e32 v84, 0xbe3c28d5, v65
	v_add_f32_e32 v79, v86, v79
	v_mul_f32_e32 v88, 0xbe8c1d8e, v46
	v_add_f32_e32 v81, v6, v81
	v_fmamk_f32 v86, v72, 0x3e3c28d5, v82
	v_mul_f32_e32 v87, 0x3f6eb680, v66
	v_add_f32_e32 v79, v84, v79
	v_fmac_f32_e32 v83, 0x3f7ee86f, v68
	v_fmamk_f32 v84, v70, 0xbf763a35, v88
	v_add_f32_e32 v81, v81, v86
	v_mul_f32_e32 v86, 0x3f6eb680, v49
	v_fmamk_f32 v89, v55, 0x3eb8f4ab, v87
	v_mul_f32_e32 v90, 0xbf1a4643, v67
	v_add_f32_e32 v79, v83, v79
	v_fmac_f32_e32 v87, 0xbeb8f4ab, v55
	v_add_f32_e32 v81, v84, v81
	v_fmamk_f32 v83, v73, 0xbeb8f4ab, v86
	v_mul_f32_e32 v84, 0x3ee437d1, v59
	v_add_f32_e32 v80, v89, v80
	v_fmamk_f32 v89, v61, 0x3f4c4adb, v90
	v_add_f32_e32 v79, v87, v79
	v_add_f32_e32 v81, v83, v81
	v_fmamk_f32 v83, v65, 0x3f65296c, v84
	v_mul_f32_e32 v87, 0xbf59a7d5, v64
	v_fmac_f32_e32 v90, 0xbf4c4adb, v61
	v_add_f32_e32 v80, v89, v80
	v_fmac_f32_e32 v85, 0xbf7ee86f, v71
	v_add_f32_e32 v81, v83, v81
	v_fmamk_f32 v83, v68, 0x3f06c442, v87
	v_mul_f32_e32 v89, 0x3ee437d1, v5
	v_add_f32_e32 v79, v90, v79
	v_add_f32_e32 v85, v6, v85
	v_fmac_f32_e32 v82, 0xbe3c28d5, v72
	v_add_f32_e32 v81, v83, v81
	v_mul_f32_e32 v83, 0xbf1a4643, v66
	v_fmamk_f32 v90, v71, 0x3f65296c, v89
	v_mul_f32_e32 v91, 0xbf1a4643, v41
	v_add_f32_e32 v82, v85, v82
	v_fmac_f32_e32 v88, 0x3f763a35, v70
	v_fmamk_f32 v85, v55, 0xbf4c4adb, v83
	v_add_f32_e32 v90, v6, v90
	v_fmamk_f32 v92, v72, 0x3f4c4adb, v91
	v_mul_f32_e32 v93, 0xbf7ba420, v46
	v_add_f32_e32 v82, v88, v82
	v_fmac_f32_e32 v86, 0x3eb8f4ab, v73
	v_add_f32_e32 v81, v85, v81
	v_add_f32_e32 v85, v90, v92
	v_fmamk_f32 v88, v70, 0xbe3c28d5, v93
	v_mul_f32_e32 v90, 0xbe8c1d8e, v49
	v_add_f32_e32 v82, v86, v82
	v_fmac_f32_e32 v89, 0xbf65296c, v71
	v_fmac_f32_e32 v84, 0xbf65296c, v65
	v_add_f32_e32 v71, v88, v85
	v_fmamk_f32 v85, v73, 0xbf763a35, v90
	v_mul_f32_e32 v86, 0x3f3d2fb0, v59
	v_fmac_f32_e32 v87, 0xbf06c442, v68
	v_add_f32_e32 v82, v84, v82
	v_fmac_f32_e32 v93, 0x3e3c28d5, v70
	v_add_f32_e32 v71, v85, v71
	v_fmamk_f32 v84, v65, 0xbf2c7751, v86
	v_fmac_f32_e32 v83, 0x3f4c4adb, v55
	v_add_f32_e32 v70, v87, v82
	v_fmac_f32_e32 v90, 0x3f763a35, v73
	v_mul_f32_e32 v73, 0x3dbcf732, v41
	v_add_f32_e32 v71, v84, v71
	v_mul_f32_e32 v84, 0x3f3d2fb0, v5
	v_add_f32_e32 v70, v83, v70
	v_add_f32_e32 v83, v6, v34
	;; [unrolled: 1-line block ×3, first 2 shown]
	v_mul_f32_e32 v85, 0x3f6eb680, v64
	v_add_f32_e32 v69, v69, v84
	v_mul_f32_e32 v41, 0x3f3d2fb0, v41
	v_add_f32_e32 v83, v83, v32
	v_mul_f32_e32 v5, 0x3f6eb680, v5
	v_fmamk_f32 v82, v68, 0x3eb8f4ab, v85
	v_add_f32_e32 v69, v6, v69
	v_fmac_f32_e32 v85, 0xbeb8f4ab, v68
	v_add_f32_e32 v41, v43, v41
	v_add_f32_e32 v5, v42, v5
	v_mul_f32_e32 v42, 0xbf7ba420, v49
	v_add_f32_e32 v50, v69, v50
	v_add_f32_e32 v69, v83, v30
	v_fmac_f32_e32 v91, 0xbf4c4adb, v72
	v_add_f32_e32 v72, v6, v89
	v_add_f32_e32 v5, v6, v5
	v_add_f32_e32 v6, v57, v42
	v_add_f32_e32 v68, v69, v38
	v_mul_f32_e32 v42, 0x3ee437d1, v46
	v_mul_f32_e32 v73, 0xbf1a4643, v46
	;; [unrolled: 1-line block ×3, first 2 shown]
	v_add_f32_e32 v5, v5, v41
	v_add_f32_e32 v43, v68, v36
	v_add_f32_e32 v42, v44, v42
	v_add_f32_e32 v72, v72, v91
	v_add_f32_e32 v58, v58, v73
	v_mul_f32_e32 v41, 0xbe8c1d8e, v59
	v_add_f32_e32 v43, v43, v22
	v_add_f32_e32 v5, v42, v5
	;; [unrolled: 1-line block ×6, first 2 shown]
	v_mul_f32_e32 v82, 0x3dbcf732, v66
	v_add_f32_e32 v50, v58, v50
	v_mul_f32_e32 v49, 0xbf59a7d5, v59
	v_mul_f32_e32 v44, 0xbf1a4643, v64
	v_add_f32_e32 v43, v43, v28
	v_add_f32_e32 v5, v45, v5
	;; [unrolled: 1-line block ×4, first 2 shown]
	v_fmamk_f32 v84, v55, 0x3f7ee86f, v82
	v_add_f32_e32 v43, v43, v26
	v_fmac_f32_e32 v86, 0x3f2c7751, v65
	v_mul_f32_e32 v57, 0xbe8c1d8e, v64
	v_add_f32_e32 v6, v6, v50
	v_add_f32_e32 v49, v51, v49
	;; [unrolled: 1-line block ×3, first 2 shown]
	v_mul_f32_e32 v50, 0xbf59a7d5, v66
	v_add_f32_e32 v5, v41, v5
	v_add_f32_e32 v41, v48, v44
	;; [unrolled: 1-line block ×5, first 2 shown]
	v_mul_f32_e32 v58, 0x3ee437d1, v66
	v_add_f32_e32 v6, v49, v6
	v_add_f32_e32 v49, v54, v57
	;; [unrolled: 1-line block ×3, first 2 shown]
	v_mul_f32_e32 v42, 0xbf7ba420, v67
	v_add_f32_e32 v5, v41, v5
	v_add_f32_e32 v41, v56, v50
	v_mul_f32_e32 v51, 0x3f6eb680, v67
	v_add_f32_e32 v43, v43, v18
	v_mul_f32_e32 v59, 0xbf59a7d5, v67
	v_add_f32_e32 v64, v85, v71
	v_fmac_f32_e32 v82, 0xbf7ee86f, v55
	v_add_f32_e32 v6, v49, v6
	v_add_f32_e32 v43, v43, v14
	;; [unrolled: 1-line block ×3, first 2 shown]
	v_mul_f32_e32 v46, 0x3f3d2fb0, v67
	v_add_f32_e32 v5, v41, v5
	v_add_f32_e32 v41, v63, v42
	;; [unrolled: 1-line block ×3, first 2 shown]
	v_mul_u32_u24_e32 v43, 0x44, v4
	v_fmamk_f32 v47, v61, 0x3f06c442, v59
	v_add_f32_e32 v48, v82, v64
	v_fmac_f32_e32 v59, 0xbf06c442, v61
	v_add_f32_e32 v6, v44, v6
	v_add_f32_e32 v44, v62, v51
	v_fmamk_f32 v45, v61, 0xbf2c7751, v46
	v_fmac_f32_e32 v46, 0x3f2c7751, v61
	v_add_f32_e32 v5, v41, v5
	v_add_f32_e32 v41, v10, v42
	v_add3_u32 v42, 0, v43, v0
	v_add_f32_e32 v48, v59, v48
	v_add_f32_e32 v6, v44, v6
	;; [unrolled: 1-line block ×5, first 2 shown]
	ds_write2_b32 v42, v41, v5 offset1:1
	ds_write2_b32 v42, v6, v48 offset0:2 offset1:3
	ds_write2_b32 v42, v43, v79 offset0:4 offset1:5
	;; [unrolled: 1-line block ×7, first 2 shown]
	ds_write_b32 v42, v53 offset:64
.LBB0_14:
	s_or_b32 exec_lo, exec_lo, s0
	v_lshlrev_b32_e32 v5, 2, v4
	s_waitcnt lgkmcnt(0)
	s_barrier
	buffer_gl0_inv
	v_cmp_gt_u32_e64 s0, 17, v4
	v_add_nc_u32_e32 v60, 0, v5
	v_add3_u32 v55, 0, v0, v5
                                        ; implicit-def: $vgpr58
                                        ; implicit-def: $vgpr59
	v_add_nc_u32_e32 v54, v60, v0
	ds_read_b32 v56, v55
	v_add_nc_u32_e32 v40, 0x400, v54
	v_add_nc_u32_e32 v41, 0x600, v54
	;; [unrolled: 1-line block ×5, first 2 shown]
	ds_read2_b32 v[5:6], v54 offset0:85 offset1:170
	v_add_nc_u32_e32 v57, 0x1000, v54
	ds_read2_b32 v[50:51], v40 offset0:16 offset1:101
	ds_read2_b32 v[44:45], v41 offset0:58 offset1:160
	;; [unrolled: 1-line block ×6, first 2 shown]
                                        ; implicit-def: $vgpr57
	s_and_saveexec_b32 s4, s0
	s_cbranch_execz .LBB0_16
; %bb.15:
	ds_read_b32 v52, v54 offset:1020
	ds_read_b32 v53, v54 offset:2108
	;; [unrolled: 1-line block ×5, first 2 shown]
.LBB0_16:
	s_or_b32 exec_lo, exec_lo, s4
	v_sub_f32_e32 v80, v34, v10
	v_add_f32_e32 v75, v35, v11
	v_sub_f32_e32 v72, v32, v12
	v_add_f32_e32 v71, v33, v13
	v_sub_f32_e32 v68, v30, v14
	v_mul_f32_e32 v78, 0xbeb8f4ab, v80
	v_mul_f32_e32 v79, 0xbf2c7751, v80
	;; [unrolled: 1-line block ×4, first 2 shown]
	v_add_f32_e32 v67, v31, v15
	v_fmamk_f32 v10, v75, 0x3f6eb680, v78
	v_fmamk_f32 v12, v75, 0x3f3d2fb0, v79
	v_fmamk_f32 v14, v71, 0x3f3d2fb0, v77
	v_fmamk_f32 v30, v71, 0x3dbcf732, v76
	v_mul_f32_e32 v74, 0xbf65296c, v68
	v_add_f32_e32 v10, v7, v10
	v_add_f32_e32 v12, v7, v12
	v_mul_f32_e32 v73, 0xbf4c4adb, v68
	v_sub_f32_e32 v64, v38, v18
	v_add_f32_e32 v63, v39, v19
	v_add_f32_e32 v10, v10, v14
	;; [unrolled: 1-line block ×3, first 2 shown]
	v_fmamk_f32 v14, v67, 0x3ee437d1, v74
	v_fmamk_f32 v18, v67, 0xbf1a4643, v73
	v_mul_f32_e32 v70, 0xbf7ee86f, v64
	v_mul_f32_e32 v69, 0xbe3c28d5, v64
	v_sub_f32_e32 v38, v36, v24
	v_add_f32_e32 v10, v14, v10
	v_add_f32_e32 v12, v18, v12
	v_fmamk_f32 v14, v63, 0x3dbcf732, v70
	v_fmamk_f32 v18, v63, 0xbf7ba420, v69
	v_add_f32_e32 v36, v37, v25
	v_mul_f32_e32 v66, 0xbf763a35, v38
	v_mul_f32_e32 v65, 0x3f06c442, v38
	v_sub_f32_e32 v32, v22, v16
	v_add_f32_e32 v10, v14, v10
	v_add_f32_e32 v12, v18, v12
	v_fmamk_f32 v14, v36, 0xbe8c1d8e, v66
	v_fmamk_f32 v16, v36, 0xbf59a7d5, v65
	v_add_f32_e32 v30, v23, v17
	v_mul_f32_e32 v62, 0xbf4c4adb, v32
	v_mul_f32_e32 v61, 0x3f763a35, v32
	v_add_f32_e32 v10, v14, v10
	v_sub_f32_e32 v14, v8, v20
	v_add_f32_e32 v8, v16, v12
	v_fmamk_f32 v16, v30, 0xbf1a4643, v62
	v_fmamk_f32 v18, v30, 0xbe8c1d8e, v61
	v_add_f32_e32 v12, v9, v21
	v_mul_f32_e32 v34, 0xbf06c442, v14
	v_mul_f32_e32 v20, 0x3f65296c, v14
	v_add_f32_e32 v22, v16, v10
	v_sub_f32_e32 v10, v28, v26
	v_add_f32_e32 v24, v18, v8
	v_fmamk_f32 v26, v12, 0xbf59a7d5, v34
	v_fmamk_f32 v28, v12, 0x3ee437d1, v20
	v_add_f32_e32 v8, v29, v27
	v_mul_f32_e32 v16, 0xbe3c28d5, v10
	v_mul_f32_e32 v18, 0x3eb8f4ab, v10
	v_add_f32_e32 v22, v26, v22
	v_add_f32_e32 v26, v28, v24
	s_waitcnt lgkmcnt(0)
	v_fmamk_f32 v24, v8, 0xbf7ba420, v16
	v_fmamk_f32 v28, v8, 0x3f6eb680, v18
	s_barrier
	buffer_gl0_inv
	v_add_f32_e32 v24, v24, v22
	v_add_f32_e32 v22, v28, v26
	s_and_saveexec_b32 s4, s1
	s_cbranch_execz .LBB0_18
; %bb.17:
	v_add_f32_e32 v26, v7, v35
	v_mul_f32_e32 v28, 0x3f6eb680, v75
	v_mul_f32_e32 v35, 0x3f3d2fb0, v75
	;; [unrolled: 1-line block ×4, first 2 shown]
	v_add_f32_e32 v26, v26, v33
	v_sub_f32_e32 v28, v28, v78
	v_sub_f32_e32 v35, v35, v79
	v_mul_f32_e32 v81, 0x3f3d2fb0, v71
	v_mul_f32_e32 v92, 0xbf7ee86f, v80
	v_add_f32_e32 v26, v26, v31
	v_mul_f32_e32 v93, 0xbf763a35, v80
	v_mul_f32_e32 v94, 0xbf4c4adb, v80
	v_mul_f32_e32 v96, 0xbe3c28d5, v72
	v_mul_f32_e32 v33, 0x3ee437d1, v67
	v_add_f32_e32 v26, v26, v39
	v_fma_f32 v79, 0xbe8c1d8e, v75, -v93
	v_fmac_f32_e32 v93, 0xbe8c1d8e, v75
	v_mul_f32_e32 v83, 0xbf1a4643, v67
	v_sub_f32_e32 v33, v33, v74
	v_add_f32_e32 v26, v26, v37
	v_mul_f32_e32 v37, 0xbf65296c, v80
	v_mul_f32_e32 v84, 0x3dbcf732, v63
	;; [unrolled: 1-line block ×4, first 2 shown]
	v_add_f32_e32 v23, v26, v23
	v_fma_f32 v78, 0x3ee437d1, v75, -v37
	v_mul_f32_e32 v26, 0xbf06c442, v80
	v_mul_f32_e32 v80, 0xbe3c28d5, v80
	v_fmac_f32_e32 v37, 0x3ee437d1, v75
	v_add_f32_e32 v9, v23, v9
	v_mul_f32_e32 v23, 0x3f06c442, v72
	v_fma_f32 v97, 0xbf59a7d5, v75, -v26
	v_fmac_f32_e32 v26, 0xbf59a7d5, v75
	v_add_f32_e32 v37, v7, v37
	v_add_f32_e32 v9, v9, v29
	v_fma_f32 v29, 0x3dbcf732, v75, -v92
	v_fmac_f32_e32 v92, 0x3dbcf732, v75
	v_add_f32_e32 v26, v7, v26
	v_mul_f32_e32 v86, 0xbf59a7d5, v36
	v_add_f32_e32 v9, v9, v27
	v_fma_f32 v27, 0xbf1a4643, v75, -v94
	v_fmac_f32_e32 v94, 0xbf1a4643, v75
	v_sub_f32_e32 v31, v31, v66
	v_mul_f32_e32 v87, 0xbf1a4643, v30
	v_add_f32_e32 v9, v9, v21
	v_fma_f32 v21, 0xbf7ba420, v75, -v80
	v_fmac_f32_e32 v80, 0xbf7ba420, v75
	v_sub_f32_e32 v75, v81, v77
	v_fma_f32 v77, 0xbf7ba420, v71, -v96
	v_add_f32_e32 v9, v9, v17
	v_sub_f32_e32 v17, v82, v76
	v_fma_f32 v76, 0xbf1a4643, v71, -v95
	v_fmac_f32_e32 v95, 0xbf1a4643, v71
	v_add_f32_e32 v81, v7, v97
	v_add_f32_e32 v9, v9, v25
	;; [unrolled: 1-line block ×14, first 2 shown]
	v_fmac_f32_e32 v96, 0xbf7ba420, v71
	v_fma_f32 v28, 0xbf59a7d5, v71, -v23
	v_add_f32_e32 v9, v9, v13
	v_add_f32_e32 v13, v7, v21
	v_add_f32_e32 v21, v25, v75
	v_add_f32_e32 v25, v37, v95
	v_mul_f32_e32 v37, 0x3f65296c, v72
	v_add_f32_e32 v9, v11, v9
	v_add_f32_e32 v11, v35, v76
	v_mul_f32_e32 v35, 0x3f763a35, v72
	v_mul_f32_e32 v72, 0x3eb8f4ab, v72
	v_fma_f32 v76, 0x3ee437d1, v71, -v37
	v_fmac_f32_e32 v37, 0x3ee437d1, v71
	v_add_f32_e32 v7, v7, v80
	v_fma_f32 v75, 0xbe8c1d8e, v71, -v35
	v_fmac_f32_e32 v35, 0xbe8c1d8e, v71
	v_fmac_f32_e32 v23, 0xbf59a7d5, v71
	v_add_f32_e32 v26, v26, v37
	v_sub_f32_e32 v37, v83, v73
	v_add_f32_e32 v21, v33, v21
	v_add_f32_e32 v27, v27, v35
	v_fma_f32 v35, 0x3f6eb680, v71, -v72
	v_fmac_f32_e32 v72, 0x3f6eb680, v71
	v_mul_f32_e32 v33, 0x3f763a35, v68
	v_add_f32_e32 v17, v37, v17
	v_mul_f32_e32 v37, 0x3f2c7751, v68
	v_add_f32_e32 v13, v13, v35
	;; [unrolled: 2-line block ×3, first 2 shown]
	v_add_f32_e32 v28, v78, v28
	v_add_f32_e32 v23, v79, v23
	;; [unrolled: 1-line block ×3, first 2 shown]
	v_fma_f32 v71, 0xbf7ba420, v67, -v35
	v_fmac_f32_e32 v35, 0xbf7ba420, v67
	v_fma_f32 v72, 0xbe8c1d8e, v67, -v33
	v_fmac_f32_e32 v33, 0xbe8c1d8e, v67
	v_add_f32_e32 v15, v15, v75
	v_add_f32_e32 v11, v71, v11
	;; [unrolled: 1-line block ×3, first 2 shown]
	v_fma_f32 v35, 0x3f3d2fb0, v67, -v37
	v_mul_f32_e32 v71, 0xbeb8f4ab, v68
	v_fmac_f32_e32 v37, 0x3f3d2fb0, v67
	v_add_f32_e32 v29, v33, v29
	v_mul_f32_e32 v33, 0xbf7ee86f, v68
	v_add_f32_e32 v28, v35, v28
	v_fma_f32 v35, 0x3f6eb680, v67, -v71
	v_add_f32_e32 v23, v37, v23
	v_mul_f32_e32 v37, 0xbf06c442, v68
	v_fma_f32 v68, 0x3dbcf732, v67, -v33
	v_fmac_f32_e32 v33, 0x3dbcf732, v67
	v_add_f32_e32 v15, v35, v15
	v_fmac_f32_e32 v71, 0x3f6eb680, v67
	v_fma_f32 v35, 0xbf59a7d5, v67, -v37
	v_fmac_f32_e32 v37, 0xbf59a7d5, v67
	v_add_f32_e32 v26, v33, v26
	v_sub_f32_e32 v33, v84, v70
	v_mul_f32_e32 v88, 0xbe8c1d8e, v30
	v_add_f32_e32 v13, v35, v13
	v_mul_f32_e32 v35, 0x3f763a35, v64
	v_add_f32_e32 v7, v37, v7
	v_sub_f32_e32 v37, v85, v69
	v_add_f32_e32 v21, v33, v21
	v_mul_f32_e32 v33, 0x3eb8f4ab, v64
	v_fma_f32 v67, 0xbe8c1d8e, v63, -v35
	v_fmac_f32_e32 v35, 0xbe8c1d8e, v63
	v_add_f32_e32 v17, v37, v17
	v_mul_f32_e32 v37, 0xbf65296c, v64
	v_fma_f32 v69, 0x3f6eb680, v63, -v33
	v_add_f32_e32 v11, v67, v11
	v_add_f32_e32 v25, v35, v25
	v_fmac_f32_e32 v33, 0x3f6eb680, v63
	v_fma_f32 v35, 0x3ee437d1, v63, -v37
	v_mul_f32_e32 v67, 0xbf06c442, v64
	v_fmac_f32_e32 v37, 0x3ee437d1, v63
	v_add_f32_e32 v21, v31, v21
	v_add_f32_e32 v29, v33, v29
	;; [unrolled: 1-line block ×3, first 2 shown]
	v_mul_f32_e32 v33, 0x3f4c4adb, v64
	v_fma_f32 v35, 0xbf59a7d5, v63, -v67
	v_add_f32_e32 v23, v37, v23
	v_mul_f32_e32 v37, 0x3f2c7751, v64
	v_mul_f32_e32 v31, 0xbf65296c, v38
	v_fma_f32 v64, 0xbf1a4643, v63, -v33
	v_add_f32_e32 v15, v35, v15
	v_fmac_f32_e32 v33, 0xbf1a4643, v63
	v_fma_f32 v35, 0x3f3d2fb0, v63, -v37
	v_fmac_f32_e32 v37, 0x3f3d2fb0, v63
	v_fmac_f32_e32 v67, 0xbf59a7d5, v63
	v_fma_f32 v63, 0x3ee437d1, v36, -v31
	v_add_f32_e32 v26, v33, v26
	v_add_f32_e32 v13, v35, v13
	v_mul_f32_e32 v33, 0x3f2c7751, v38
	v_sub_f32_e32 v35, v86, v65
	v_add_f32_e32 v7, v37, v7
	v_fmac_f32_e32 v31, 0x3ee437d1, v36
	v_add_f32_e32 v75, v81, v76
	v_fma_f32 v37, 0x3f3d2fb0, v36, -v33
	v_fmac_f32_e32 v33, 0x3f3d2fb0, v36
	v_add_f32_e32 v17, v35, v17
	v_mul_f32_e32 v35, 0xbe3c28d5, v38
	v_add_f32_e32 v29, v31, v29
	v_add_f32_e32 v11, v37, v11
	;; [unrolled: 1-line block ×3, first 2 shown]
	v_mul_f32_e32 v37, 0x3f7ee86f, v38
	v_fma_f32 v33, 0xbf7ba420, v36, -v35
	v_fmac_f32_e32 v35, 0xbf7ba420, v36
	v_mul_f32_e32 v31, 0xbeb8f4ab, v38
	v_add_f32_e32 v27, v71, v27
	v_add_f32_e32 v68, v68, v75
	;; [unrolled: 1-line block ×3, first 2 shown]
	v_fma_f32 v33, 0x3dbcf732, v36, -v37
	v_add_f32_e32 v23, v35, v23
	v_mul_f32_e32 v35, 0xbf4c4adb, v38
	v_fma_f32 v38, 0x3f6eb680, v36, -v31
	v_fmac_f32_e32 v31, 0x3f6eb680, v36
	v_add_f32_e32 v15, v33, v15
	v_add_f32_e32 v27, v67, v27
	v_fma_f32 v33, 0xbf1a4643, v36, -v35
	v_fmac_f32_e32 v35, 0xbf1a4643, v36
	v_add_f32_e32 v26, v31, v26
	v_sub_f32_e32 v31, v87, v62
	v_add_f32_e32 v64, v64, v68
	v_add_f32_e32 v13, v33, v13
	v_mul_f32_e32 v33, 0xbeb8f4ab, v32
	v_add_f32_e32 v7, v35, v7
	v_sub_f32_e32 v35, v88, v61
	v_fmac_f32_e32 v37, 0x3dbcf732, v36
	v_add_f32_e32 v21, v31, v21
	v_mul_f32_e32 v31, 0xbf06c442, v32
	v_fma_f32 v36, 0x3f6eb680, v30, -v33
	v_fmac_f32_e32 v33, 0x3f6eb680, v30
	v_add_f32_e32 v17, v35, v17
	v_mul_f32_e32 v35, 0x3f7ee86f, v32
	v_add_f32_e32 v19, v19, v77
	v_add_f32_e32 v27, v37, v27
	;; [unrolled: 1-line block ×3, first 2 shown]
	v_fma_f32 v38, 0xbf59a7d5, v30, -v31
	v_add_f32_e32 v11, v36, v11
	v_add_f32_e32 v25, v33, v25
	v_fmac_f32_e32 v31, 0xbf59a7d5, v30
	v_fma_f32 v33, 0x3dbcf732, v30, -v35
	v_mul_f32_e32 v36, 0xbf2c7751, v32
	v_add_f32_e32 v19, v72, v19
	v_fmac_f32_e32 v35, 0x3dbcf732, v30
	v_add_f32_e32 v29, v31, v29
	v_add_f32_e32 v28, v33, v28
	v_mul_f32_e32 v31, 0xbe3c28d5, v32
	v_fma_f32 v33, 0x3f3d2fb0, v30, -v36
	v_mul_f32_e32 v32, 0x3f65296c, v32
	v_mul_f32_e32 v39, 0xbf59a7d5, v12
	;; [unrolled: 1-line block ×3, first 2 shown]
	v_add_f32_e32 v19, v69, v19
	v_add_f32_e32 v23, v35, v23
	v_fma_f32 v35, 0xbf7ba420, v30, -v31
	v_add_f32_e32 v15, v33, v15
	v_fmac_f32_e32 v31, 0xbf7ba420, v30
	v_fma_f32 v33, 0x3ee437d1, v30, -v32
	v_fmac_f32_e32 v32, 0x3ee437d1, v30
	v_add_f32_e32 v19, v63, v19
	v_fmac_f32_e32 v36, 0x3f3d2fb0, v30
	v_add_f32_e32 v26, v31, v26
	v_sub_f32_e32 v30, v39, v34
	v_mul_f32_e32 v31, 0xbf7ee86f, v14
	v_add_f32_e32 v7, v32, v7
	v_sub_f32_e32 v20, v89, v20
	v_mul_f32_e32 v32, 0x3f4c4adb, v14
	v_add_f32_e32 v19, v38, v19
	v_add_f32_e32 v13, v33, v13
	;; [unrolled: 1-line block ×3, first 2 shown]
	v_fma_f32 v30, 0x3dbcf732, v12, -v31
	v_add_f32_e32 v17, v20, v17
	v_fma_f32 v20, 0xbf1a4643, v12, -v32
	v_mul_f32_e32 v33, 0xbeb8f4ab, v14
	v_fmac_f32_e32 v31, 0x3dbcf732, v12
	v_add_f32_e32 v11, v30, v11
	v_mul_f32_e32 v30, 0xbe3c28d5, v14
	v_add_f32_e32 v19, v20, v19
	v_fma_f32 v20, 0x3f6eb680, v12, -v33
	v_add_f32_e32 v25, v31, v25
	v_fmac_f32_e32 v32, 0xbf1a4643, v12
	v_mul_f32_e32 v31, 0x3f2c7751, v14
	v_add_f32_e32 v27, v36, v27
	v_add_f32_e32 v20, v20, v28
	v_fma_f32 v28, 0xbf7ba420, v12, -v30
	v_fmac_f32_e32 v30, 0xbf7ba420, v12
	v_mul_f32_e32 v14, 0xbf763a35, v14
	v_mul_f32_e32 v90, 0xbf7ba420, v8
	v_add_f32_e32 v29, v32, v29
	v_fma_f32 v32, 0x3f3d2fb0, v12, -v31
	v_fmac_f32_e32 v31, 0x3f3d2fb0, v12
	v_mul_f32_e32 v91, 0x3f6eb680, v8
	v_add_f32_e32 v27, v30, v27
	v_fma_f32 v30, 0xbe8c1d8e, v12, -v14
	v_fmac_f32_e32 v14, 0xbe8c1d8e, v12
	v_fmac_f32_e32 v33, 0x3f6eb680, v12
	v_add_f32_e32 v12, v31, v26
	v_mul_f32_e32 v26, 0xbf06c442, v10
	v_sub_f32_e32 v16, v90, v16
	v_add_f32_e32 v7, v14, v7
	v_sub_f32_e32 v14, v91, v18
	v_add_f32_e32 v23, v33, v23
	v_fma_f32 v18, 0xbf59a7d5, v8, -v26
	v_add_f32_e32 v16, v16, v21
	v_mul_f32_e32 v21, 0x3f2c7751, v10
	v_fmac_f32_e32 v26, 0xbf59a7d5, v8
	v_add_f32_e32 v14, v14, v17
	v_mul_f32_e32 v17, 0xbf4c4adb, v10
	v_add_f32_e32 v11, v18, v11
	v_fma_f32 v18, 0x3f3d2fb0, v8, -v21
	v_add_f32_e32 v25, v26, v25
	v_fmac_f32_e32 v21, 0x3f3d2fb0, v8
	v_mul_f32_e32 v26, 0x3f65296c, v10
	v_add_f32_e32 v13, v30, v13
	v_fma_f32 v30, 0xbf1a4643, v8, -v17
	v_fmac_f32_e32 v17, 0xbf1a4643, v8
	v_add_f32_e32 v15, v28, v15
	v_add_f32_e32 v18, v18, v19
	;; [unrolled: 1-line block ×3, first 2 shown]
	v_fma_f32 v21, 0x3ee437d1, v8, -v26
	v_fmac_f32_e32 v26, 0x3ee437d1, v8
	v_add_f32_e32 v35, v35, v37
	v_add_f32_e32 v17, v17, v23
	v_mul_f32_e32 v23, 0xbf763a35, v10
	v_mul_f32_e32 v10, 0x3f7ee86f, v10
	v_add_f32_e32 v15, v21, v15
	v_add_f32_e32 v21, v26, v27
	v_lshlrev_b32_e32 v26, 6, v4
	v_add_f32_e32 v28, v32, v35
	v_fma_f32 v27, 0xbe8c1d8e, v8, -v23
	v_fma_f32 v29, 0x3dbcf732, v8, -v10
	v_fmac_f32_e32 v10, 0x3dbcf732, v8
	v_fmac_f32_e32 v23, 0xbe8c1d8e, v8
	v_add3_u32 v8, v60, v26, v0
	v_add_f32_e32 v20, v30, v20
	v_add_f32_e32 v26, v27, v28
	;; [unrolled: 1-line block ×5, first 2 shown]
	ds_write2_b32 v8, v9, v16 offset1:1
	ds_write2_b32 v8, v14, v11 offset0:2 offset1:3
	ds_write2_b32 v8, v18, v20 offset0:4 offset1:5
	;; [unrolled: 1-line block ×7, first 2 shown]
	ds_write_b32 v8, v24 offset:64
.LBB0_18:
	s_or_b32 exec_lo, exec_lo, s4
	v_add_nc_u32_e32 v7, 0x400, v54
	s_waitcnt lgkmcnt(0)
	s_barrier
	buffer_gl0_inv
	v_add_nc_u32_e32 v8, 0x600, v54
	ds_read_b32 v21, v55
	ds_read2_b32 v[11:12], v7 offset0:16 offset1:101
	v_add_nc_u32_e32 v7, 0xc00, v54
	v_add_nc_u32_e32 v13, 0xe00, v54
	;; [unrolled: 1-line block ×4, first 2 shown]
	ds_read2_b32 v[9:10], v8 offset0:58 offset1:160
	ds_read2_b32 v[19:20], v7 offset0:48 offset1:133
	;; [unrolled: 1-line block ×6, first 2 shown]
                                        ; implicit-def: $vgpr28
                                        ; implicit-def: $vgpr27
                                        ; implicit-def: $vgpr26
	s_and_saveexec_b32 s1, s0
	s_cbranch_execz .LBB0_20
; %bb.19:
	ds_read_b32 v22, v54 offset:1020
	ds_read_b32 v24, v54 offset:2108
	;; [unrolled: 1-line block ×5, first 2 shown]
.LBB0_20:
	s_or_b32 exec_lo, exec_lo, s1
	v_and_b32_e32 v23, 0xff, v4
	v_add_nc_u32_e32 v25, 0xff, v4
	v_mov_b32_e32 v29, 0xf0f1
	v_add_nc_u16 v32, v4, 0x55
	v_add_nc_u16 v35, v4, 0xaa
	v_mul_lo_u16 v23, 0xf1, v23
	v_mov_b32_e32 v31, 5
	v_mov_b32_e32 v65, 2
	v_and_b32_e32 v33, 0xff, v32
	v_lshrrev_b16 v30, 12, v23
	v_mul_u32_u24_sdwa v23, v25, v29 dst_sel:DWORD dst_unused:UNUSED_PAD src0_sel:WORD_0 src1_sel:DWORD
	v_mul_lo_u16 v29, v30, 17
	v_lshrrev_b32_e32 v23, 20, v23
	v_and_b32_e32 v30, 0xffff, v30
	v_sub_nc_u16 v29, v4, v29
	v_mul_lo_u16 v23, v23, 17
	v_mad_u32_u24 v30, 0x154, v30, 0
	v_lshlrev_b32_sdwa v34, v31, v29 dst_sel:DWORD dst_unused:UNUSED_PAD src0_sel:DWORD src1_sel:BYTE_0
	v_sub_nc_u16 v23, v25, v23
	v_mul_lo_u16 v25, 0xf1, v33
	v_and_b32_e32 v33, 0xff, v35
	v_lshlrev_b32_sdwa v29, v65, v29 dst_sel:DWORD dst_unused:UNUSED_PAD src0_sel:DWORD src1_sel:BYTE_0
	s_clause 0x1
	global_load_dwordx4 v[36:39], v34, s[8:9]
	global_load_dwordx4 v[66:69], v34, s[8:9] offset:16
	v_lshlrev_b32_sdwa v34, v31, v23 dst_sel:DWORD dst_unused:UNUSED_PAD src0_sel:DWORD src1_sel:WORD_0
	v_lshrrev_b16 v25, 12, v25
	v_mul_lo_u16 v33, 0xf1, v33
	s_clause 0x1
	global_load_dwordx4 v[70:73], v34, s[8:9]
	global_load_dwordx4 v[74:77], v34, s[8:9] offset:16
	v_lshrrev_b16 v33, 12, v33
	v_mul_lo_u16 v60, v25, 17
	v_and_b32_e32 v25, 0xffff, v25
	v_mul_lo_u16 v34, v33, 17
	v_sub_nc_u16 v32, v32, v60
	v_mad_u32_u24 v25, 0x154, v25, 0
	v_sub_nc_u16 v34, v35, v34
	v_lshlrev_b32_sdwa v60, v31, v32 dst_sel:DWORD dst_unused:UNUSED_PAD src0_sel:DWORD src1_sel:BYTE_0
	v_lshlrev_b32_sdwa v32, v65, v32 dst_sel:DWORD dst_unused:UNUSED_PAD src0_sel:DWORD src1_sel:BYTE_0
	;; [unrolled: 1-line block ×3, first 2 shown]
	s_clause 0x3
	global_load_dwordx4 v[78:81], v60, s[8:9]
	global_load_dwordx4 v[82:85], v60, s[8:9] offset:16
	global_load_dwordx4 v[86:89], v31, s[8:9]
	global_load_dwordx4 v[90:93], v31, s[8:9] offset:16
	v_and_b32_e32 v31, 0xffff, v33
	v_add3_u32 v35, v25, v32, v0
	v_lshlrev_b32_sdwa v34, v65, v34 dst_sel:DWORD dst_unused:UNUSED_PAD src0_sel:DWORD src1_sel:BYTE_0
	v_add3_u32 v33, v30, v29, v0
	s_waitcnt vmcnt(0) lgkmcnt(0)
	v_mad_u32_u24 v31, 0x154, v31, 0
	s_barrier
	buffer_gl0_inv
	v_add3_u32 v32, v31, v34, v0
	v_mul_f32_e32 v61, v11, v37
	v_mul_f32_e32 v25, v50, v37
	;; [unrolled: 1-line block ×9, first 2 shown]
	v_fmac_f32_e32 v61, v50, v36
	v_fma_f32 v50, v11, v36, -v25
	v_fmac_f32_e32 v62, v45, v38
	v_fma_f32 v60, v10, v38, -v37
	;; [unrolled: 2-line block ×4, first 2 shown]
	v_mul_f32_e32 v29, v24, v71
	v_mul_f32_e32 v30, v26, v73
	v_mul_f32_e32 v71, v59, v73
	v_mul_f32_e32 v31, v27, v75
	v_mul_f32_e32 v73, v58, v75
	v_mul_f32_e32 v34, v28, v77
	v_mul_f32_e32 v75, v57, v77
	v_fma_f32 v25, v24, v70, -v69
	v_mul_f32_e32 v38, v12, v79
	v_mul_f32_e32 v36, v51, v79
	;; [unrolled: 1-line block ×14, first 2 shown]
	v_fma_f32 v24, v12, v78, -v36
	v_fmac_f32_e32 v37, v46, v80
	v_fmac_f32_e32 v39, v49, v82
	;; [unrolled: 1-line block ×4, first 2 shown]
	v_fma_f32 v12, v18, v88, -v79
	v_fmac_f32_e32 v19, v43, v92
	v_add_f32_e32 v18, v62, v63
	v_sub_f32_e32 v43, v61, v62
	v_sub_f32_e32 v44, v64, v63
	;; [unrolled: 1-line block ×4, first 2 shown]
	v_mul_f32_e32 v66, v46, v81
	v_fmac_f32_e32 v38, v51, v78
	v_fmac_f32_e32 v41, v42, v84
	v_add_f32_e32 v46, v61, v64
	v_mul_f32_e32 v81, v40, v91
	v_fmac_f32_e32 v14, v40, v90
	v_fma_f32 v15, v15, v84, -v68
	v_sub_f32_e32 v40, v50, v45
	v_fma_f32 v18, -0.5, v18, v56
	v_add_f32_e32 v43, v43, v44
	v_add_f32_e32 v44, v47, v49
	;; [unrolled: 1-line block ×3, first 2 shown]
	v_fmac_f32_e32 v31, v58, v74
	v_fma_f32 v17, v17, v80, -v66
	v_fma_f32 v20, v20, v82, -v67
	v_fma_f32 v36, v16, v92, -v83
	v_add_f32_e32 v16, v56, v61
	v_sub_f32_e32 v42, v60, v48
	v_fmac_f32_e32 v56, -0.5, v46
	v_add_f32_e32 v46, v5, v38
	v_add_f32_e32 v58, v38, v41
	v_fmac_f32_e32 v29, v53, v70
	v_fmac_f32_e32 v30, v59, v72
	v_fma_f32 v27, v27, v74, -v73
	v_fmac_f32_e32 v34, v57, v76
	v_fma_f32 v9, v9, v86, -v77
	v_fma_f32 v13, v13, v90, -v81
	v_sub_f32_e32 v53, v38, v37
	v_sub_f32_e32 v57, v41, v39
	;; [unrolled: 1-line block ×4, first 2 shown]
	v_add_f32_e32 v68, v10, v14
	v_add_f32_e32 v73, v11, v19
	v_fma_f32 v28, v28, v76, -v75
	v_sub_f32_e32 v49, v24, v15
	v_fmamk_f32 v76, v40, 0xbf737871, v18
	v_fmac_f32_e32 v18, 0x3f737871, v40
	v_fma_f32 v47, -0.5, v47, v5
	v_sub_f32_e32 v51, v17, v20
	v_fmamk_f32 v77, v42, 0x3f737871, v56
	v_fmac_f32_e32 v56, 0xbf737871, v42
	v_add_f32_e32 v46, v46, v37
	v_fma_f32 v5, -0.5, v58, v5
	v_fma_f32 v26, v26, v72, -v71
	v_add_f32_e32 v16, v16, v62
	v_add_f32_e32 v67, v6, v11
	v_sub_f32_e32 v69, v9, v36
	v_sub_f32_e32 v70, v12, v13
	;; [unrolled: 1-line block ×4, first 2 shown]
	v_add_f32_e32 v53, v53, v57
	v_add_f32_e32 v57, v59, v66
	v_fma_f32 v59, -0.5, v68, v6
	v_fmac_f32_e32 v6, -0.5, v73
	v_fmac_f32_e32 v76, 0xbf167918, v42
	v_fmac_f32_e32 v18, 0x3f167918, v42
	v_fmamk_f32 v42, v49, 0xbf737871, v47
	v_fmac_f32_e32 v77, 0xbf167918, v40
	v_fmac_f32_e32 v56, 0x3f167918, v40
	v_add_f32_e32 v40, v46, v39
	v_fmamk_f32 v46, v51, 0x3f737871, v5
	v_fmac_f32_e32 v5, 0xbf737871, v51
	v_sub_f32_e32 v74, v10, v11
	v_sub_f32_e32 v75, v14, v19
	v_add_f32_e32 v16, v16, v63
	v_add_f32_e32 v58, v67, v10
	;; [unrolled: 1-line block ×3, first 2 shown]
	v_fmac_f32_e32 v47, 0x3f737871, v49
	v_fmamk_f32 v68, v69, 0xbf737871, v59
	v_fmac_f32_e32 v59, 0x3f737871, v69
	v_fmamk_f32 v71, v70, 0x3f737871, v6
	v_fmac_f32_e32 v6, 0xbf737871, v70
	v_fmac_f32_e32 v42, 0xbf167918, v51
	;; [unrolled: 1-line block ×4, first 2 shown]
	v_add_f32_e32 v67, v74, v75
	v_add_f32_e32 v16, v16, v64
	;; [unrolled: 1-line block ×3, first 2 shown]
	v_fmac_f32_e32 v76, 0x3e9e377a, v43
	v_fmac_f32_e32 v47, 0x3f167918, v51
	;; [unrolled: 1-line block ×9, first 2 shown]
	v_add_f32_e32 v40, v40, v41
	v_fmac_f32_e32 v42, 0x3e9e377a, v53
	v_fmac_f32_e32 v46, 0x3e9e377a, v57
	;; [unrolled: 1-line block ×3, first 2 shown]
	v_add_f32_e32 v43, v58, v19
	v_fmac_f32_e32 v47, 0x3e9e377a, v53
	v_fmac_f32_e32 v68, 0x3e9e377a, v66
	;; [unrolled: 1-line block ×5, first 2 shown]
	ds_write2_b32 v33, v16, v76 offset1:17
	ds_write2_b32 v33, v77, v56 offset0:34 offset1:51
	ds_write_b32 v33, v18 offset:272
	ds_write2_b32 v35, v40, v42 offset1:17
	ds_write2_b32 v35, v46, v5 offset0:34 offset1:51
	ds_write_b32 v35, v47 offset:272
	;; [unrolled: 3-line block ×3, first 2 shown]
	s_and_saveexec_b32 s1, s0
	s_cbranch_execz .LBB0_22
; %bb.21:
	v_add_f32_e32 v5, v29, v34
	v_add_f32_e32 v42, v30, v31
	v_sub_f32_e32 v6, v30, v29
	v_sub_f32_e32 v16, v31, v34
	;; [unrolled: 1-line block ×4, first 2 shown]
	v_fma_f32 v5, -0.5, v5, v52
	v_add_f32_e32 v46, v52, v29
	v_fma_f32 v42, -0.5, v42, v52
	v_sub_f32_e32 v43, v29, v30
	v_sub_f32_e32 v44, v34, v31
	v_fmamk_f32 v47, v40, 0xbf737871, v5
	v_lshlrev_b32_sdwa v49, v65, v23 dst_sel:DWORD dst_unused:UNUSED_PAD src0_sel:DWORD src1_sel:WORD_0
	v_add_f32_e32 v6, v6, v16
	v_fmac_f32_e32 v5, 0x3f737871, v40
	v_fmamk_f32 v16, v18, 0x3f737871, v42
	v_fmac_f32_e32 v42, 0xbf737871, v18
	v_add_f32_e32 v46, v46, v30
	v_fmac_f32_e32 v47, 0x3f167918, v18
	v_fmac_f32_e32 v5, 0xbf167918, v18
	v_add_f32_e32 v18, v43, v44
	v_fmac_f32_e32 v42, 0xbf167918, v40
	v_add_f32_e32 v43, v46, v31
	v_add3_u32 v44, 0, v49, v0
	v_fmac_f32_e32 v16, 0x3f167918, v40
	v_fmac_f32_e32 v47, 0x3e9e377a, v6
	;; [unrolled: 1-line block ×4, first 2 shown]
	v_add_f32_e32 v6, v43, v34
	v_add_nc_u32_e32 v40, 0x1200, v44
	v_add_nc_u32_e32 v43, 0x1400, v44
	v_fmac_f32_e32 v16, 0x3e9e377a, v18
	ds_write2_b32 v40, v6, v42 offset0:123 offset1:140
	ds_write2_b32 v43, v5, v47 offset0:29 offset1:46
	ds_write_b32 v44, v16 offset:5372
.LBB0_22:
	s_or_b32 exec_lo, exec_lo, s1
	v_add_f32_e32 v5, v60, v48
	v_sub_f32_e32 v16, v61, v64
	v_add_f32_e32 v43, v50, v45
	v_add_f32_e32 v6, v21, v50
	v_sub_f32_e32 v18, v62, v63
	v_fma_f32 v42, -0.5, v5, v21
	v_sub_f32_e32 v40, v50, v60
	v_sub_f32_e32 v5, v45, v48
	v_fmac_f32_e32 v21, -0.5, v43
	v_add_f32_e32 v43, v7, v24
	v_fmamk_f32 v46, v16, 0x3f737871, v42
	v_fmac_f32_e32 v42, 0xbf737871, v16
	v_add_f32_e32 v6, v6, v60
	v_add_f32_e32 v5, v40, v5
	v_fmamk_f32 v40, v18, 0xbf737871, v21
	v_fmac_f32_e32 v46, 0x3f167918, v18
	v_fmac_f32_e32 v42, 0xbf167918, v18
	;; [unrolled: 1-line block ×3, first 2 shown]
	v_add_f32_e32 v18, v43, v17
	v_add_f32_e32 v43, v17, v20
	v_sub_f32_e32 v44, v60, v50
	v_sub_f32_e32 v47, v48, v45
	v_add_f32_e32 v6, v6, v48
	v_fmac_f32_e32 v46, 0x3e9e377a, v5
	v_fmac_f32_e32 v40, 0x3f167918, v16
	;; [unrolled: 1-line block ×4, first 2 shown]
	v_add_f32_e32 v5, v18, v20
	v_fma_f32 v43, -0.5, v43, v7
	v_add_f32_e32 v16, v24, v15
	v_sub_f32_e32 v18, v38, v41
	v_add_f32_e32 v45, v6, v45
	v_add_f32_e32 v6, v44, v47
	;; [unrolled: 1-line block ×3, first 2 shown]
	v_sub_f32_e32 v5, v37, v39
	v_fma_f32 v37, -0.5, v16, v7
	v_fmamk_f32 v39, v18, 0x3f737871, v43
	v_fmac_f32_e32 v43, 0xbf737871, v18
	v_fmac_f32_e32 v40, 0x3e9e377a, v6
	;; [unrolled: 1-line block ×3, first 2 shown]
	v_sub_f32_e32 v6, v24, v17
	v_sub_f32_e32 v7, v15, v20
	v_fmamk_f32 v41, v5, 0xbf737871, v37
	v_sub_f32_e32 v16, v17, v24
	v_sub_f32_e32 v15, v20, v15
	v_fmac_f32_e32 v39, 0x3f167918, v5
	v_fmac_f32_e32 v43, 0xbf167918, v5
	v_fmac_f32_e32 v37, 0x3f737871, v5
	v_add_f32_e32 v5, v12, v13
	v_add_f32_e32 v6, v6, v7
	v_fmac_f32_e32 v41, 0x3f167918, v18
	v_add_f32_e32 v7, v16, v15
	v_fmac_f32_e32 v37, 0xbf167918, v18
	v_fma_f32 v44, -0.5, v5, v8
	v_add_f32_e32 v5, v9, v36
	v_sub_f32_e32 v47, v11, v19
	v_fmac_f32_e32 v39, 0x3e9e377a, v6
	v_fmac_f32_e32 v43, 0x3e9e377a, v6
	v_add_f32_e32 v6, v8, v9
	v_fmac_f32_e32 v41, 0x3e9e377a, v7
	v_fmac_f32_e32 v37, 0x3e9e377a, v7
	v_sub_f32_e32 v7, v10, v14
	v_fmac_f32_e32 v8, -0.5, v5
	v_fmamk_f32 v48, v47, 0x3f737871, v44
	v_fmac_f32_e32 v44, 0xbf737871, v47
	v_add_f32_e32 v6, v6, v12
	v_sub_f32_e32 v5, v9, v12
	v_sub_f32_e32 v10, v36, v13
	v_fmamk_f32 v49, v7, 0xbf737871, v8
	v_fmac_f32_e32 v48, 0x3f167918, v7
	v_fmac_f32_e32 v44, 0xbf167918, v7
	;; [unrolled: 1-line block ×3, first 2 shown]
	v_add_nc_u32_e32 v7, 0x200, v54
	v_add_f32_e32 v50, v6, v13
	v_add_f32_e32 v51, v5, v10
	v_sub_f32_e32 v52, v12, v9
	s_waitcnt lgkmcnt(0)
	s_barrier
	buffer_gl0_inv
	ds_read2_b32 v[5:6], v54 offset0:85 offset1:170
	ds_read2_b32 v[9:10], v7 offset0:127 offset1:212
	v_add_nc_u32_e32 v7, 0x400, v54
	v_add_nc_u32_e32 v11, 0x800, v54
	v_sub_f32_e32 v53, v13, v36
	v_add_nc_u32_e32 v13, 0xa00, v54
	v_add_nc_u32_e32 v15, 0xc00, v54
	;; [unrolled: 1-line block ×3, first 2 shown]
	ds_read2_b32 v[17:18], v7 offset0:169 offset1:254
	ds_read2_b32 v[11:12], v11 offset0:83 offset1:168
	;; [unrolled: 1-line block ×5, first 2 shown]
	ds_read_b32 v7, v55
	ds_read_b32 v24, v54 offset:5100
	v_fmac_f32_e32 v49, 0x3f167918, v47
	v_add_f32_e32 v52, v52, v53
	v_fmac_f32_e32 v8, 0xbf167918, v47
	v_add_f32_e32 v36, v50, v36
	v_fmac_f32_e32 v48, 0x3e9e377a, v51
	v_fmac_f32_e32 v44, 0x3e9e377a, v51
	;; [unrolled: 1-line block ×4, first 2 shown]
	s_waitcnt lgkmcnt(0)
	s_barrier
	buffer_gl0_inv
	ds_write2_b32 v33, v45, v46 offset1:17
	ds_write2_b32 v33, v40, v21 offset0:34 offset1:51
	ds_write_b32 v33, v42 offset:272
	ds_write2_b32 v35, v38, v39 offset1:17
	ds_write2_b32 v35, v41, v37 offset0:34 offset1:51
	ds_write_b32 v35, v43 offset:272
	;; [unrolled: 3-line block ×3, first 2 shown]
	s_and_saveexec_b32 s1, s0
	s_cbranch_execz .LBB0_24
; %bb.23:
	v_add_f32_e32 v21, v26, v27
	v_sub_f32_e32 v30, v30, v31
	v_add_f32_e32 v31, v25, v28
	v_add_f32_e32 v8, v22, v25
	v_sub_f32_e32 v29, v29, v34
	v_fma_f32 v21, -0.5, v21, v22
	v_sub_f32_e32 v32, v25, v26
	v_fmac_f32_e32 v22, -0.5, v31
	v_mov_b32_e32 v31, 2
	v_sub_f32_e32 v33, v28, v27
	v_add_f32_e32 v8, v8, v26
	v_fmamk_f32 v34, v29, 0x3f737871, v21
	v_sub_f32_e32 v25, v26, v25
	v_lshlrev_b32_sdwa v23, v31, v23 dst_sel:DWORD dst_unused:UNUSED_PAD src0_sel:DWORD src1_sel:WORD_0
	v_add_f32_e32 v32, v32, v33
	v_fmamk_f32 v33, v30, 0xbf737871, v22
	v_sub_f32_e32 v26, v27, v28
	v_fmac_f32_e32 v22, 0x3f737871, v30
	v_fmac_f32_e32 v21, 0xbf737871, v29
	v_add_f32_e32 v8, v8, v27
	v_fmac_f32_e32 v34, 0x3f167918, v30
	v_add3_u32 v0, 0, v23, v0
	v_fmac_f32_e32 v33, 0x3f167918, v29
	v_add_f32_e32 v25, v25, v26
	v_fmac_f32_e32 v22, 0xbf167918, v29
	v_fmac_f32_e32 v21, 0xbf167918, v30
	v_add_f32_e32 v8, v8, v28
	v_fmac_f32_e32 v34, 0x3e9e377a, v32
	v_add_nc_u32_e32 v23, 0x1200, v0
	v_fmac_f32_e32 v33, 0x3e9e377a, v25
	v_fmac_f32_e32 v22, 0x3e9e377a, v25
	v_add_nc_u32_e32 v25, 0x1400, v0
	v_fmac_f32_e32 v21, 0x3e9e377a, v32
	ds_write2_b32 v23, v8, v34 offset0:123 offset1:140
	ds_write2_b32 v25, v33, v22 offset0:29 offset1:46
	ds_write_b32 v0, v21 offset:5372
.LBB0_24:
	s_or_b32 exec_lo, exec_lo, s1
	s_waitcnt lgkmcnt(0)
	s_barrier
	buffer_gl0_inv
	s_and_saveexec_b32 s0, vcc_lo
	s_cbranch_execz .LBB0_26
; %bb.25:
	v_mul_u32_u24_e32 v0, 15, v4
	v_mov_b32_e32 v4, 0
	v_add_nc_u32_e32 v8, 0xa00, v54
	v_add_nc_u32_e32 v64, 0x200, v54
	;; [unrolled: 1-line block ×3, first 2 shown]
	v_lshlrev_b32_e32 v0, 3, v0
	v_add_nc_u32_e32 v23, 0x400, v54
	v_add_nc_u32_e32 v60, 0x1000, v54
	;; [unrolled: 1-line block ×3, first 2 shown]
	s_clause 0x7
	global_load_dwordx4 v[25:28], v0, s[8:9] offset:544
	global_load_dwordx4 v[29:32], v0, s[8:9] offset:608
	;; [unrolled: 1-line block ×7, first 2 shown]
	global_load_dwordx2 v[21:22], v0, s[8:9] offset:656
	v_lshlrev_b64 v[0:1], 3, v[1:2]
	v_lshlrev_b64 v[2:3], 3, v[3:4]
	ds_read2_b32 v[56:57], v54 offset0:85 offset1:170
	ds_read_b32 v55, v55
	ds_read_b32 v74, v54 offset:5100
	ds_read2_b32 v[53:54], v8 offset0:125 offset1:210
	ds_read2_b32 v[58:59], v23 offset0:169 offset1:254
	;; [unrolled: 1-line block ×4, first 2 shown]
	v_add_co_u32 v4, vcc_lo, s2, v0
	v_add_co_ci_u32_e32 v8, vcc_lo, s3, v1, vcc_lo
	ds_read2_b32 v[0:1], v64 offset0:127 offset1:212
	ds_read2_b32 v[64:65], v65 offset0:167 offset1:252
	v_add_co_u32 v2, vcc_lo, v4, v2
	v_add_co_ci_u32_e32 v3, vcc_lo, v8, v3, vcc_lo
	v_add_co_u32 v66, vcc_lo, 0x800, v2
	v_add_co_ci_u32_e32 v67, vcc_lo, 0, v3, vcc_lo
	;; [unrolled: 2-line block ×5, first 2 shown]
	s_waitcnt vmcnt(7)
	v_mul_f32_e32 v4, v6, v28
	s_waitcnt vmcnt(6)
	v_mul_f32_e32 v8, v14, v32
	;; [unrolled: 2-line block ×7, first 2 shown]
	v_mul_f32_e32 v18, v18, v36
	v_mul_f32_e32 v20, v20, v40
	s_waitcnt lgkmcnt(8)
	v_mul_f32_e32 v28, v57, v28
	s_waitcnt lgkmcnt(5)
	v_mul_f32_e32 v32, v54, v32
	v_mul_f32_e32 v79, v9, v46
	;; [unrolled: 1-line block ×4, first 2 shown]
	s_waitcnt vmcnt(0)
	v_mul_f32_e32 v82, v24, v21
	v_mul_f32_e32 v83, v5, v26
	;; [unrolled: 1-line block ×7, first 2 shown]
	s_waitcnt lgkmcnt(1)
	v_mul_f32_e32 v46, v0, v46
	s_waitcnt lgkmcnt(0)
	v_mul_f32_e32 v50, v64, v50
	v_mul_f32_e32 v17, v17, v34
	;; [unrolled: 1-line block ×8, first 2 shown]
	v_fma_f32 v4, v57, v27, -v4
	v_fma_f32 v8, v54, v31, -v8
	v_fmac_f32_e32 v23, v59, v36
	v_fmac_f32_e32 v75, v61, v40
	v_fma_f32 v36, v63, v43, -v76
	v_fmac_f32_e32 v77, v1, v48
	v_fmac_f32_e32 v78, v65, v52
	v_fma_f32 v18, v59, v35, -v18
	v_fma_f32 v20, v61, v39, -v20
	v_fmac_f32_e32 v28, v6, v27
	v_fmac_f32_e32 v32, v14, v31
	v_fma_f32 v0, v0, v45, -v79
	;; [unrolled: 4-line block ×6, first 2 shown]
	v_fma_f32 v5, v65, v51, -v16
	v_fmac_f32_e32 v44, v12, v43
	v_sub_f32_e32 v8, v4, v8
	v_sub_f32_e32 v10, v23, v75
	v_sub_f32_e32 v12, v55, v36
	v_sub_f32_e32 v13, v77, v78
	v_sub_f32_e32 v16, v18, v20
	v_sub_f32_e32 v17, v28, v32
	v_sub_f32_e32 v6, v0, v6
	v_sub_f32_e32 v19, v81, v82
	v_sub_f32_e32 v20, v14, v22
	v_sub_f32_e32 v22, v85, v86
	v_sub_f32_e32 v21, v11, v21
	v_sub_f32_e32 v24, v46, v50
	v_sub_f32_e32 v15, v9, v15
	v_sub_f32_e32 v25, v26, v30
	v_sub_f32_e32 v5, v1, v5
	v_sub_f32_e32 v27, v7, v44
	v_sub_f32_e32 v29, v8, v10
	v_sub_f32_e32 v30, v12, v13
	v_add_f32_e32 v31, v17, v16
	v_sub_f32_e32 v32, v6, v19
	v_sub_f32_e32 v33, v20, v22
	v_add_f32_e32 v34, v24, v21
	v_add_f32_e32 v35, v25, v15
	;; [unrolled: 1-line block ×3, first 2 shown]
	v_fma_f32 v37, v55, 2.0, -v12
	v_fma_f32 v1, v1, 2.0, -v5
	;; [unrolled: 1-line block ×16, first 2 shown]
	v_fmamk_f32 v18, v29, 0x3f3504f3, v30
	v_fmamk_f32 v23, v32, 0x3f3504f3, v33
	;; [unrolled: 1-line block ×4, first 2 shown]
	v_sub_f32_e32 v38, v37, v1
	v_sub_f32_e32 v1, v5, v10
	v_sub_f32_e32 v9, v14, v9
	v_sub_f32_e32 v10, v15, v19
	v_sub_f32_e32 v11, v0, v11
	v_sub_f32_e32 v19, v21, v22
	v_sub_f32_e32 v16, v4, v16
	v_sub_f32_e32 v13, v7, v13
	v_fma_f32 v22, v12, 2.0, -v30
	v_fma_f32 v8, v8, 2.0, -v29
	;; [unrolled: 1-line block ×8, first 2 shown]
	v_fmac_f32_e32 v18, 0xbf3504f3, v31
	v_fmac_f32_e32 v23, 0xbf3504f3, v34
	;; [unrolled: 1-line block ×4, first 2 shown]
	v_sub_f32_e32 v27, v38, v1
	v_sub_f32_e32 v29, v9, v10
	v_add_f32_e32 v31, v11, v19
	v_add_f32_e32 v32, v16, v13
	v_fmamk_f32 v34, v8, 0xbf3504f3, v22
	v_fmamk_f32 v39, v6, 0xbf3504f3, v17
	;; [unrolled: 1-line block ×4, first 2 shown]
	v_fma_f32 v37, v37, 2.0, -v38
	v_fma_f32 v16, v4, 2.0, -v16
	;; [unrolled: 1-line block ×8, first 2 shown]
	v_fmamk_f32 v1, v23, 0x3f6c835e, v18
	v_fmamk_f32 v5, v29, 0x3f3504f3, v27
	;; [unrolled: 1-line block ×3, first 2 shown]
	v_fmac_f32_e32 v34, 0xbf3504f3, v12
	v_fmac_f32_e32 v39, 0xbf3504f3, v20
	;; [unrolled: 1-line block ×4, first 2 shown]
	v_sub_f32_e32 v20, v37, v16
	v_sub_f32_e32 v16, v21, v10
	;; [unrolled: 1-line block ×4, first 2 shown]
	v_fma_f32 v38, v38, 2.0, -v27
	v_fma_f32 v44, v9, 2.0, -v29
	v_fma_f32 v45, v19, 2.0, -v31
	v_fma_f32 v46, v13, 2.0, -v32
	v_fma_f32 v30, v30, 2.0, -v18
	v_fma_f32 v33, v33, 2.0, -v23
	v_fma_f32 v35, v35, 2.0, -v26
	v_fma_f32 v36, v36, 2.0, -v28
	v_fmamk_f32 v0, v26, 0x3f6c835e, v28
	v_fmac_f32_e32 v1, 0xbec3ef15, v26
	v_fmac_f32_e32 v5, 0xbf3504f3, v31
	v_fmac_f32_e32 v4, 0x3f3504f3, v29
	v_sub_f32_e32 v9, v20, v16
	v_add_f32_e32 v8, v42, v43
	v_fma_f32 v29, v22, 2.0, -v34
	v_fma_f32 v26, v17, 2.0, -v39
	;; [unrolled: 1-line block ×8, first 2 shown]
	v_fmamk_f32 v13, v44, 0xbf3504f3, v38
	v_fmamk_f32 v12, v45, 0xbf3504f3, v46
	;; [unrolled: 1-line block ×6, first 2 shown]
	v_fmac_f32_e32 v0, 0x3ec3ef15, v23
	v_fma_f32 v19, v20, 2.0, -v9
	v_fmamk_f32 v21, v26, 0xbf6c835e, v29
	v_fmamk_f32 v20, v31, 0xbf6c835e, v47
	v_sub_f32_e32 v23, v37, v22
	v_sub_f32_e32 v22, v43, v24
	v_fmac_f32_e32 v13, 0xbf3504f3, v45
	v_fmac_f32_e32 v12, 0x3f3504f3, v44
	;; [unrolled: 1-line block ×6, first 2 shown]
	v_fma_f32 v15, v18, 2.0, -v1
	v_fma_f32 v17, v27, 2.0, -v5
	;; [unrolled: 1-line block ×3, first 2 shown]
	v_fmac_f32_e32 v21, 0xbec3ef15, v31
	v_fmac_f32_e32 v20, 0x3ec3ef15, v26
	v_fma_f32 v27, v37, 2.0, -v23
	v_fma_f32 v26, v43, 2.0, -v22
	;; [unrolled: 1-line block ×6, first 2 shown]
	global_store_dwordx2 v[70:71], v[8:9], off offset:2016
	global_store_dwordx2 v[72:73], v[4:5], off offset:1328
	v_fma_f32 v9, v30, 2.0, -v11
	v_fma_f32 v8, v36, 2.0, -v10
	;; [unrolled: 1-line block ×4, first 2 shown]
	global_store_dwordx2 v[66:67], v[18:19], off offset:672
	global_store_dwordx2 v[66:67], v[16:17], off offset:2032
	;; [unrolled: 1-line block ×7, first 2 shown]
	v_fma_f32 v7, v29, 2.0, -v21
	v_fma_f32 v6, v47, 2.0, -v20
	global_store_dwordx2 v[2:3], v[26:27], off
	global_store_dwordx2 v[2:3], v[24:25], off offset:1360
	global_store_dwordx2 v[2:3], v[8:9], off offset:2040
	;; [unrolled: 1-line block ×6, first 2 shown]
.LBB0_26:
	s_endpgm
	.section	.rodata,"a",@progbits
	.p2align	6, 0x0
	.amdhsa_kernel fft_rtc_back_len1360_factors_17_5_16_wgs_255_tpt_85_halfLds_sp_ip_CI_unitstride_sbrr_dirReg
		.amdhsa_group_segment_fixed_size 0
		.amdhsa_private_segment_fixed_size 0
		.amdhsa_kernarg_size 88
		.amdhsa_user_sgpr_count 6
		.amdhsa_user_sgpr_private_segment_buffer 1
		.amdhsa_user_sgpr_dispatch_ptr 0
		.amdhsa_user_sgpr_queue_ptr 0
		.amdhsa_user_sgpr_kernarg_segment_ptr 1
		.amdhsa_user_sgpr_dispatch_id 0
		.amdhsa_user_sgpr_flat_scratch_init 0
		.amdhsa_user_sgpr_private_segment_size 0
		.amdhsa_wavefront_size32 1
		.amdhsa_uses_dynamic_stack 0
		.amdhsa_system_sgpr_private_segment_wavefront_offset 0
		.amdhsa_system_sgpr_workgroup_id_x 1
		.amdhsa_system_sgpr_workgroup_id_y 0
		.amdhsa_system_sgpr_workgroup_id_z 0
		.amdhsa_system_sgpr_workgroup_info 0
		.amdhsa_system_vgpr_workitem_id 0
		.amdhsa_next_free_vgpr 98
		.amdhsa_next_free_sgpr 21
		.amdhsa_reserve_vcc 1
		.amdhsa_reserve_flat_scratch 0
		.amdhsa_float_round_mode_32 0
		.amdhsa_float_round_mode_16_64 0
		.amdhsa_float_denorm_mode_32 3
		.amdhsa_float_denorm_mode_16_64 3
		.amdhsa_dx10_clamp 1
		.amdhsa_ieee_mode 1
		.amdhsa_fp16_overflow 0
		.amdhsa_workgroup_processor_mode 1
		.amdhsa_memory_ordered 1
		.amdhsa_forward_progress 0
		.amdhsa_shared_vgpr_count 0
		.amdhsa_exception_fp_ieee_invalid_op 0
		.amdhsa_exception_fp_denorm_src 0
		.amdhsa_exception_fp_ieee_div_zero 0
		.amdhsa_exception_fp_ieee_overflow 0
		.amdhsa_exception_fp_ieee_underflow 0
		.amdhsa_exception_fp_ieee_inexact 0
		.amdhsa_exception_int_div_zero 0
	.end_amdhsa_kernel
	.text
.Lfunc_end0:
	.size	fft_rtc_back_len1360_factors_17_5_16_wgs_255_tpt_85_halfLds_sp_ip_CI_unitstride_sbrr_dirReg, .Lfunc_end0-fft_rtc_back_len1360_factors_17_5_16_wgs_255_tpt_85_halfLds_sp_ip_CI_unitstride_sbrr_dirReg
                                        ; -- End function
	.section	.AMDGPU.csdata,"",@progbits
; Kernel info:
; codeLenInByte = 11276
; NumSgprs: 23
; NumVgprs: 98
; ScratchSize: 0
; MemoryBound: 0
; FloatMode: 240
; IeeeMode: 1
; LDSByteSize: 0 bytes/workgroup (compile time only)
; SGPRBlocks: 2
; VGPRBlocks: 12
; NumSGPRsForWavesPerEU: 23
; NumVGPRsForWavesPerEU: 98
; Occupancy: 9
; WaveLimiterHint : 1
; COMPUTE_PGM_RSRC2:SCRATCH_EN: 0
; COMPUTE_PGM_RSRC2:USER_SGPR: 6
; COMPUTE_PGM_RSRC2:TRAP_HANDLER: 0
; COMPUTE_PGM_RSRC2:TGID_X_EN: 1
; COMPUTE_PGM_RSRC2:TGID_Y_EN: 0
; COMPUTE_PGM_RSRC2:TGID_Z_EN: 0
; COMPUTE_PGM_RSRC2:TIDIG_COMP_CNT: 0
	.text
	.p2alignl 6, 3214868480
	.fill 48, 4, 3214868480
	.type	__hip_cuid_b73c660beff23eaf,@object ; @__hip_cuid_b73c660beff23eaf
	.section	.bss,"aw",@nobits
	.globl	__hip_cuid_b73c660beff23eaf
__hip_cuid_b73c660beff23eaf:
	.byte	0                               ; 0x0
	.size	__hip_cuid_b73c660beff23eaf, 1

	.ident	"AMD clang version 19.0.0git (https://github.com/RadeonOpenCompute/llvm-project roc-6.4.0 25133 c7fe45cf4b819c5991fe208aaa96edf142730f1d)"
	.section	".note.GNU-stack","",@progbits
	.addrsig
	.addrsig_sym __hip_cuid_b73c660beff23eaf
	.amdgpu_metadata
---
amdhsa.kernels:
  - .args:
      - .actual_access:  read_only
        .address_space:  global
        .offset:         0
        .size:           8
        .value_kind:     global_buffer
      - .offset:         8
        .size:           8
        .value_kind:     by_value
      - .actual_access:  read_only
        .address_space:  global
        .offset:         16
        .size:           8
        .value_kind:     global_buffer
      - .actual_access:  read_only
        .address_space:  global
        .offset:         24
        .size:           8
        .value_kind:     global_buffer
      - .offset:         32
        .size:           8
        .value_kind:     by_value
      - .actual_access:  read_only
        .address_space:  global
        .offset:         40
        .size:           8
        .value_kind:     global_buffer
      - .actual_access:  read_only
        .address_space:  global
        .offset:         48
        .size:           8
        .value_kind:     global_buffer
      - .offset:         56
        .size:           4
        .value_kind:     by_value
      - .actual_access:  read_only
        .address_space:  global
        .offset:         64
        .size:           8
        .value_kind:     global_buffer
      - .actual_access:  read_only
        .address_space:  global
        .offset:         72
        .size:           8
        .value_kind:     global_buffer
      - .address_space:  global
        .offset:         80
        .size:           8
        .value_kind:     global_buffer
    .group_segment_fixed_size: 0
    .kernarg_segment_align: 8
    .kernarg_segment_size: 88
    .language:       OpenCL C
    .language_version:
      - 2
      - 0
    .max_flat_workgroup_size: 255
    .name:           fft_rtc_back_len1360_factors_17_5_16_wgs_255_tpt_85_halfLds_sp_ip_CI_unitstride_sbrr_dirReg
    .private_segment_fixed_size: 0
    .sgpr_count:     23
    .sgpr_spill_count: 0
    .symbol:         fft_rtc_back_len1360_factors_17_5_16_wgs_255_tpt_85_halfLds_sp_ip_CI_unitstride_sbrr_dirReg.kd
    .uniform_work_group_size: 1
    .uses_dynamic_stack: false
    .vgpr_count:     98
    .vgpr_spill_count: 0
    .wavefront_size: 32
    .workgroup_processor_mode: 1
amdhsa.target:   amdgcn-amd-amdhsa--gfx1030
amdhsa.version:
  - 1
  - 2
...

	.end_amdgpu_metadata
